;; amdgpu-corpus repo=ROCm/rocFFT kind=compiled arch=gfx906 opt=O3
	.text
	.amdgcn_target "amdgcn-amd-amdhsa--gfx906"
	.amdhsa_code_object_version 6
	.protected	bluestein_single_back_len294_dim1_half_op_CI_CI ; -- Begin function bluestein_single_back_len294_dim1_half_op_CI_CI
	.globl	bluestein_single_back_len294_dim1_half_op_CI_CI
	.p2align	8
	.type	bluestein_single_back_len294_dim1_half_op_CI_CI,@function
bluestein_single_back_len294_dim1_half_op_CI_CI: ; @bluestein_single_back_len294_dim1_half_op_CI_CI
; %bb.0:
	v_mul_u32_u24_e32 v1, 0x619, v0
	s_load_dwordx4 s[8:11], s[4:5], 0x28
	v_lshrrev_b32_e32 v1, 16, v1
	v_mad_u64_u32 v[10:11], s[0:1], s6, 3, v[1:2]
	v_mov_b32_e32 v11, 0
	s_waitcnt lgkmcnt(0)
	v_cmp_gt_u64_e32 vcc, s[8:9], v[10:11]
	s_and_saveexec_b64 s[0:1], vcc
	s_cbranch_execz .LBB0_15
; %bb.1:
	s_load_dwordx4 s[12:15], s[4:5], 0x18
	v_mul_lo_u16_e32 v1, 42, v1
	v_sub_u16_e32 v32, v0, v1
	v_lshlrev_b32_e32 v21, 2, v32
	s_waitcnt lgkmcnt(0)
	s_load_dwordx4 s[0:3], s[12:13], 0x0
	s_waitcnt lgkmcnt(0)
	v_mad_u64_u32 v[0:1], s[6:7], s2, v10, 0
	v_mad_u64_u32 v[2:3], s[6:7], s0, v32, 0
	s_mul_i32 s6, s1, 49
	s_mul_hi_u32 s7, s0, 49
	v_mad_u64_u32 v[4:5], s[2:3], s3, v10, v[1:2]
	s_add_i32 s7, s7, s6
	s_mul_i32 s6, s0, 49
	v_mad_u64_u32 v[5:6], s[2:3], s1, v32, v[3:4]
	v_mov_b32_e32 v1, v4
	v_lshlrev_b64 v[0:1], 2, v[0:1]
	v_mov_b32_e32 v6, s11
	v_mov_b32_e32 v3, v5
	v_add_co_u32_e32 v4, vcc, s10, v0
	v_addc_co_u32_e32 v5, vcc, v6, v1, vcc
	v_lshlrev_b64 v[0:1], 2, v[2:3]
	s_load_dwordx2 s[2:3], s[4:5], 0x0
	v_add_co_u32_e32 v0, vcc, v4, v0
	v_addc_co_u32_e32 v1, vcc, v5, v1, vcc
	s_lshl_b64 s[12:13], s[6:7], 2
	global_load_dword v2, v[0:1], off
	v_mov_b32_e32 v3, s13
	v_add_co_u32_e32 v0, vcc, s12, v0
	v_addc_co_u32_e32 v1, vcc, v1, v3, vcc
	s_waitcnt lgkmcnt(0)
	global_load_dword v34, v21, s[2:3]
	global_load_dword v4, v[0:1], off
	global_load_dword v33, v21, s[2:3] offset:196
	v_add_co_u32_e32 v0, vcc, s12, v0
	v_addc_co_u32_e32 v1, vcc, v1, v3, vcc
	global_load_dword v5, v[0:1], off
	global_load_dword v31, v21, s[2:3] offset:392
	v_add_co_u32_e32 v0, vcc, s12, v0
	v_addc_co_u32_e32 v1, vcc, v1, v3, vcc
	;; [unrolled: 4-line block ×4, first 2 shown]
	global_load_dword v3, v[0:1], off
	global_load_dword v28, v21, s[2:3] offset:980
	s_mov_b32 s6, 0xaaaaaaab
	v_mul_hi_u32 v8, v10, s6
	s_load_dwordx2 s[6:7], s[4:5], 0x38
	s_load_dwordx4 s[8:11], s[14:15], 0x0
	v_mov_b32_e32 v9, s3
	v_lshrrev_b32_e32 v8, 1, v8
	v_lshl_add_u32 v11, v8, 1, v8
	v_sub_u32_e32 v11, v10, v11
	v_mul_u32_u24_e32 v11, 0x126, v11
	v_lshlrev_b32_e32 v35, 2, v11
	v_add_u32_e32 v27, v21, v35
	v_add_co_u32_e32 v8, vcc, s2, v21
	v_addc_co_u32_e32 v9, vcc, 0, v9, vcc
	v_cmp_gt_u16_e32 vcc, 7, v32
	s_waitcnt vmcnt(11)
	v_lshrrev_b32_e32 v11, 16, v2
	s_waitcnt vmcnt(10)
	v_mul_f16_sdwa v12, v34, v2 dst_sel:DWORD dst_unused:UNUSED_PAD src0_sel:WORD_1 src1_sel:DWORD
	v_mul_f16_sdwa v13, v34, v11 dst_sel:DWORD dst_unused:UNUSED_PAD src0_sel:WORD_1 src1_sel:DWORD
	v_fma_f16 v11, v34, v11, -v12
	s_waitcnt vmcnt(9)
	v_lshrrev_b32_e32 v12, 16, v4
	s_waitcnt vmcnt(8)
	v_mul_f16_sdwa v14, v33, v4 dst_sel:DWORD dst_unused:UNUSED_PAD src0_sel:WORD_1 src1_sel:DWORD
	v_fma_f16 v2, v34, v2, v13
	v_mul_f16_sdwa v13, v33, v12 dst_sel:DWORD dst_unused:UNUSED_PAD src0_sel:WORD_1 src1_sel:DWORD
	v_fma_f16 v12, v33, v12, -v14
	s_waitcnt vmcnt(7)
	v_lshrrev_b32_e32 v14, 16, v5
	s_waitcnt vmcnt(6)
	v_mul_f16_sdwa v15, v31, v5 dst_sel:DWORD dst_unused:UNUSED_PAD src0_sel:WORD_1 src1_sel:DWORD
	v_pack_b32_f16 v2, v2, v11
	v_fma_f16 v4, v33, v4, v13
	v_mul_f16_sdwa v11, v31, v14 dst_sel:DWORD dst_unused:UNUSED_PAD src0_sel:WORD_1 src1_sel:DWORD
	v_fma_f16 v13, v31, v14, -v15
	s_waitcnt vmcnt(5)
	v_lshrrev_b32_e32 v14, 16, v6
	s_waitcnt vmcnt(4)
	v_mul_f16_sdwa v15, v30, v6 dst_sel:DWORD dst_unused:UNUSED_PAD src0_sel:WORD_1 src1_sel:DWORD
	v_pack_b32_f16 v4, v4, v12
	v_fma_f16 v5, v31, v5, v11
	v_mul_f16_sdwa v11, v30, v14 dst_sel:DWORD dst_unused:UNUSED_PAD src0_sel:WORD_1 src1_sel:DWORD
	v_fma_f16 v12, v30, v14, -v15
	s_waitcnt vmcnt(3)
	v_lshrrev_b32_e32 v14, 16, v7
	ds_write2_b32 v27, v2, v4 offset1:49
	v_fma_f16 v4, v30, v6, v11
	s_waitcnt vmcnt(2)
	v_mul_f16_sdwa v15, v29, v7 dst_sel:DWORD dst_unused:UNUSED_PAD src0_sel:WORD_1 src1_sel:DWORD
	v_pack_b32_f16 v2, v5, v13
	v_mul_f16_sdwa v5, v29, v14 dst_sel:DWORD dst_unused:UNUSED_PAD src0_sel:WORD_1 src1_sel:DWORD
	v_pack_b32_f16 v4, v4, v12
	v_fma_f16 v5, v29, v7, v5
	ds_write2_b32 v27, v2, v4 offset0:98 offset1:147
	v_fma_f16 v2, v29, v14, -v15
	s_waitcnt vmcnt(1)
	v_lshrrev_b32_e32 v4, 16, v3
	v_pack_b32_f16 v2, v5, v2
	s_waitcnt vmcnt(0)
	v_mul_f16_sdwa v5, v28, v4 dst_sel:DWORD dst_unused:UNUSED_PAD src0_sel:WORD_1 src1_sel:DWORD
	v_fma_f16 v5, v28, v3, v5
	v_mul_f16_sdwa v3, v28, v3 dst_sel:DWORD dst_unused:UNUSED_PAD src0_sel:WORD_1 src1_sel:DWORD
	v_fma_f16 v3, v28, v4, -v3
	v_pack_b32_f16 v3, v5, v3
	ds_write2_b32 v27, v2, v3 offset0:196 offset1:245
	s_and_saveexec_b64 s[14:15], vcc
	s_cbranch_execz .LBB0_3
; %bb.2:
	v_mov_b32_e32 v2, 0xfffffcd4
	v_mad_u64_u32 v[0:1], s[16:17], s0, v2, v[0:1]
	s_mulk_i32 s1, 0xfcd4
	s_sub_i32 s0, s1, s0
	v_add_u32_e32 v1, s0, v1
	global_load_dword v2, v[0:1], off
	global_load_dword v3, v[8:9], off offset:168
	v_mov_b32_e32 v4, s13
	v_add_co_u32_e64 v0, s[0:1], s12, v0
	v_addc_co_u32_e64 v1, s[0:1], v1, v4, s[0:1]
	global_load_dword v5, v[0:1], off
	global_load_dword v6, v[8:9], off offset:364
	v_add_co_u32_e64 v0, s[0:1], s12, v0
	v_addc_co_u32_e64 v1, s[0:1], v1, v4, s[0:1]
	global_load_dword v7, v[0:1], off
	global_load_dword v11, v[8:9], off offset:560
	;; [unrolled: 4-line block ×5, first 2 shown]
	s_waitcnt vmcnt(11)
	v_lshrrev_b32_e32 v0, 16, v2
	s_waitcnt vmcnt(10)
	v_mul_f16_sdwa v1, v3, v2 dst_sel:DWORD dst_unused:UNUSED_PAD src0_sel:WORD_1 src1_sel:DWORD
	v_mul_f16_sdwa v17, v3, v0 dst_sel:DWORD dst_unused:UNUSED_PAD src0_sel:WORD_1 src1_sel:DWORD
	v_fma_f16 v0, v3, v0, -v1
	v_fma_f16 v2, v3, v2, v17
	v_pack_b32_f16 v0, v2, v0
	s_waitcnt vmcnt(9)
	v_lshrrev_b32_e32 v1, 16, v5
	s_waitcnt vmcnt(8)
	v_mul_f16_sdwa v18, v6, v5 dst_sel:DWORD dst_unused:UNUSED_PAD src0_sel:WORD_1 src1_sel:DWORD
	v_mul_f16_sdwa v3, v6, v1 dst_sel:DWORD dst_unused:UNUSED_PAD src0_sel:WORD_1 src1_sel:DWORD
	v_fma_f16 v1, v6, v1, -v18
	v_fma_f16 v2, v6, v5, v3
	s_waitcnt vmcnt(7)
	v_lshrrev_b32_e32 v17, 16, v7
	s_waitcnt vmcnt(6)
	v_mul_f16_sdwa v18, v11, v7 dst_sel:DWORD dst_unused:UNUSED_PAD src0_sel:WORD_1 src1_sel:DWORD
	v_mul_f16_sdwa v3, v11, v17 dst_sel:DWORD dst_unused:UNUSED_PAD src0_sel:WORD_1 src1_sel:DWORD
	v_fma_f16 v5, v11, v17, -v18
	v_pack_b32_f16 v1, v2, v1
	s_waitcnt vmcnt(5)
	v_lshrrev_b32_e32 v6, 16, v12
	s_waitcnt vmcnt(4)
	v_mul_f16_sdwa v17, v13, v12 dst_sel:DWORD dst_unused:UNUSED_PAD src0_sel:WORD_1 src1_sel:DWORD
	v_fma_f16 v2, v11, v7, v3
	v_mul_f16_sdwa v3, v13, v6 dst_sel:DWORD dst_unused:UNUSED_PAD src0_sel:WORD_1 src1_sel:DWORD
	v_fma_f16 v6, v13, v6, -v17
	s_waitcnt vmcnt(3)
	v_lshrrev_b32_e32 v7, 16, v14
	s_waitcnt vmcnt(2)
	v_mul_f16_sdwa v11, v15, v14 dst_sel:DWORD dst_unused:UNUSED_PAD src0_sel:WORD_1 src1_sel:DWORD
	ds_write2_b32 v27, v0, v1 offset0:42 offset1:91
	v_pack_b32_f16 v0, v2, v5
	v_fma_f16 v1, v13, v12, v3
	s_waitcnt vmcnt(1)
	v_lshrrev_b32_e32 v5, 16, v4
	v_mul_f16_sdwa v2, v15, v7 dst_sel:DWORD dst_unused:UNUSED_PAD src0_sel:WORD_1 src1_sel:DWORD
	v_fma_f16 v3, v15, v7, -v11
	s_waitcnt vmcnt(0)
	v_mul_f16_sdwa v7, v16, v4 dst_sel:DWORD dst_unused:UNUSED_PAD src0_sel:WORD_1 src1_sel:DWORD
	v_pack_b32_f16 v1, v1, v6
	v_mul_f16_sdwa v6, v16, v5 dst_sel:DWORD dst_unused:UNUSED_PAD src0_sel:WORD_1 src1_sel:DWORD
	v_fma_f16 v2, v15, v14, v2
	v_fma_f16 v5, v16, v5, -v7
	ds_write2_b32 v27, v0, v1 offset0:140 offset1:189
	v_fma_f16 v1, v16, v4, v6
	v_pack_b32_f16 v0, v2, v3
	v_pack_b32_f16 v1, v1, v5
	v_add_u32_e32 v2, 0x200, v27
	ds_write2_b32 v2, v0, v1 offset0:110 offset1:159
.LBB0_3:
	s_or_b64 exec, exec, s[14:15]
	s_waitcnt lgkmcnt(0)
	s_barrier
	ds_read2_b32 v[4:5], v27 offset1:49
	ds_read2_b32 v[0:1], v27 offset0:98 offset1:147
	ds_read2_b32 v[2:3], v27 offset0:196 offset1:245
	s_load_dwordx2 s[4:5], s[4:5], 0x8
                                        ; implicit-def: $vgpr6
                                        ; implicit-def: $vgpr11
                                        ; implicit-def: $vgpr13
	s_and_saveexec_b64 s[0:1], vcc
	s_cbranch_execz .LBB0_5
; %bb.4:
	v_add_u32_e32 v13, 0x200, v27
	ds_read2_b32 v[6:7], v27 offset0:42 offset1:91
	ds_read2_b32 v[11:12], v27 offset0:140 offset1:189
	;; [unrolled: 1-line block ×3, first 2 shown]
.LBB0_5:
	s_or_b64 exec, exec, s[0:1]
	v_add_co_u32_e64 v18, s[0:1], 42, v32
	s_waitcnt lgkmcnt(0)
	v_pk_add_f16 v16, v7, v12
	v_pk_add_f16 v15, v6, v11
	;; [unrolled: 1-line block ×4, first 2 shown]
	v_pk_add_f16 v11, v11, v13 neg_lo:[0,1] neg_hi:[0,1]
	s_movk_i32 s0, 0x3aee
	v_pk_fma_f16 v6, v16, 0.5, v6 op_sel_hi:[1,0,1] neg_lo:[1,0,0] neg_hi:[1,0,0]
	v_pk_mul_f16 v11, v11, s0 op_sel_hi:[1,0]
	v_pk_add_f16 v15, v15, v13
	v_pk_add_f16 v13, v6, v11 op_sel:[0,1] op_sel_hi:[1,0]
	v_pk_add_f16 v6, v6, v11 op_sel:[0,1] op_sel_hi:[1,0] neg_lo:[0,1] neg_hi:[0,1]
	v_pk_add_f16 v11, v12, v14
	v_pk_fma_f16 v7, v11, 0.5, v7 op_sel_hi:[1,0,1] neg_lo:[1,0,0] neg_hi:[1,0,0]
	v_pk_add_f16 v11, v12, v14 neg_lo:[0,1] neg_hi:[0,1]
	s_mov_b32 s1, 0xffff
	v_pk_fma_f16 v12, v11, s0, v7 op_sel:[0,0,1] op_sel_hi:[1,0,0]
	v_pk_fma_f16 v7, v11, s0, v7 op_sel:[0,0,1] op_sel_hi:[1,0,0] neg_lo:[1,0,0] neg_hi:[1,0,0]
	v_lshrrev_b32_e32 v14, 16, v12
	v_bfi_b32 v12, s1, v12, v7
	v_mul_f16_e32 v11, 0x3aee, v7
	v_fma_f16 v22, v14, 0.5, v11
	s_mov_b32 s12, 0xbaee3aee
	v_pk_mul_f16 v23, v12, 0.5 op_sel_hi:[1,0]
	v_mul_f16_e32 v14, 0xbaee, v14
	v_pk_add_f16 v19, v4, v0
	v_pk_fma_f16 v12, v12, s12, v23 op_sel:[0,0,1] op_sel_hi:[1,1,0] neg_lo:[0,0,1] neg_hi:[0,0,1]
	v_fma_f16 v7, v7, 0.5, v14
	v_pack_b32_f16 v14, v7, v12
	v_sub_f16_sdwa v38, v6, v7 dst_sel:DWORD dst_unused:UNUSED_PAD src0_sel:WORD_1 src1_sel:DWORD
	v_pk_add_f16 v7, v19, v2
	v_pk_add_f16 v19, v0, v2
	v_pk_add_f16 v0, v0, v2 neg_lo:[0,1] neg_hi:[0,1]
	v_pk_fma_f16 v4, v19, 0.5, v4 op_sel_hi:[1,0,1] neg_lo:[1,0,0] neg_hi:[1,0,0]
	v_pk_add_f16 v19, v1, v3
	v_pk_mul_f16 v0, v0, s0 op_sel_hi:[1,0]
	v_pk_add_f16 v20, v5, v1
	v_bfi_b32 v16, s1, v6, v13
	v_pk_fma_f16 v5, v19, 0.5, v5 op_sel_hi:[1,0,1] neg_lo:[1,0,0] neg_hi:[1,0,0]
	v_pk_add_f16 v19, v4, v0 op_sel:[0,1] op_sel_hi:[1,0]
	v_pk_add_f16 v4, v4, v0 op_sel:[0,1] op_sel_hi:[1,0] neg_lo:[0,1] neg_hi:[0,1]
	v_pk_add_f16 v0, v1, v3 neg_lo:[0,1] neg_hi:[0,1]
	v_add_f16_sdwa v36, v13, v12 dst_sel:DWORD dst_unused:UNUSED_PAD src0_sel:WORD_1 src1_sel:WORD_1
	v_pk_add_f16 v16, v16, v12 neg_lo:[0,1] neg_hi:[0,1]
	v_pk_add_f16 v12, v20, v3
	v_pk_fma_f16 v2, v0, s0, v5 op_sel:[0,0,1] op_sel_hi:[1,0,0]
	v_pk_fma_f16 v3, v0, s0, v5 op_sel:[0,0,1] op_sel_hi:[1,0,0] neg_lo:[1,0,0] neg_hi:[1,0,0]
	v_lshrrev_b32_e32 v1, 16, v2
	v_mul_f16_e32 v0, 0x3aee, v3
	v_fma_f16 v5, v1, 0.5, v0
	v_mul_f16_e32 v1, 0xbaee, v1
	v_bfi_b32 v2, s1, v2, v3
	v_fma_f16 v20, v3, 0.5, v1
	v_pk_mul_f16 v3, v2, 0.5 op_sel_hi:[1,0]
	v_add_f16_e32 v11, v13, v22
	v_pk_add_f16 v37, v6, v14 op_sel:[1,0] op_sel_hi:[0,1]
	v_sub_f16_e32 v14, v13, v22
	v_mul_u32_u24_e32 v6, 6, v32
	v_add_f16_e32 v0, v19, v5
	v_add_f16_sdwa v1, v4, v20 dst_sel:DWORD dst_unused:UNUSED_PAD src0_sel:WORD_1 src1_sel:DWORD
	v_pk_fma_f16 v22, v2, s12, v3 op_sel:[0,0,1] op_sel_hi:[1,1,0] neg_lo:[0,0,1] neg_hi:[0,0,1]
	v_bfi_b32 v2, s1, v4, v19
	v_lshl_add_u32 v39, v6, 2, v35
	v_pack_b32_f16 v1, v0, v1
	v_pk_add_f16 v0, v7, v12
	v_pk_add_f16 v3, v7, v12 neg_lo:[0,1] neg_hi:[0,1]
	v_pk_add_f16 v2, v2, v22
	s_barrier
	ds_write2_b64 v39, v[0:1], v[2:3] offset1:1
	v_pack_b32_f16 v0, v20, v22
	v_sub_f16_e32 v5, v19, v5
	v_sub_f16_sdwa v7, v19, v22 dst_sel:DWORD dst_unused:UNUSED_PAD src0_sel:WORD_1 src1_sel:WORD_1
	v_pk_add_f16 v0, v4, v0 op_sel:[1,0] op_sel_hi:[0,1] neg_lo:[0,1] neg_hi:[0,1]
	v_pk_add_f16 v13, v15, v17 neg_lo:[0,1] neg_hi:[0,1]
	v_alignbit_b32 v1, v7, v0, 16
	v_pack_b32_f16 v0, v5, v0
	v_mul_u32_u24_e32 v40, 6, v18
	ds_write_b64 v39, v[0:1] offset:16
	s_and_saveexec_b64 s[0:1], vcc
	s_cbranch_execz .LBB0_7
; %bb.6:
	s_mov_b32 s12, 0x5040100
	v_lshl_add_u32 v2, v40, 2, v35
	v_pk_add_f16 v0, v15, v17
	v_perm_b32 v1, v37, v11, s12
	v_alignbit_b32 v12, v36, v37, 16
	v_perm_b32 v15, v38, v14, s12
	ds_write2_b64 v2, v[0:1], v[12:13] offset1:1
	ds_write_b64 v2, v[15:16] offset:16
.LBB0_7:
	s_or_b64 exec, exec, s[0:1]
	s_movk_i32 s0, 0xab
	v_mul_lo_u16_sdwa v0, v32, s0 dst_sel:DWORD dst_unused:UNUSED_PAD src0_sel:BYTE_0 src1_sel:DWORD
	v_lshrrev_b16_e32 v7, 10, v0
	v_mul_lo_u16_e32 v0, 6, v7
	v_sub_u16_e32 v12, v32, v0
	v_mov_b32_e32 v0, 6
	v_mul_u32_u24_sdwa v0, v12, v0 dst_sel:DWORD dst_unused:UNUSED_PAD src0_sel:BYTE_0 src1_sel:DWORD
	v_lshlrev_b32_e32 v4, 2, v0
	s_waitcnt lgkmcnt(0)
	s_barrier
	global_load_dwordx4 v[0:3], v4, s[4:5]
	global_load_dwordx2 v[17:18], v4, s[4:5] offset:16
	ds_read2_b32 v[4:5], v27 offset1:42
	ds_read2_b32 v[19:20], v27 offset0:84 offset1:126
	ds_read2_b32 v[22:23], v27 offset0:168 offset1:210
	ds_read_b32 v15, v27 offset:1008
	s_movk_i32 s0, 0x2b26
	s_waitcnt lgkmcnt(3)
	v_lshrrev_b32_e32 v24, 16, v5
	s_waitcnt lgkmcnt(2)
	v_lshrrev_b32_e32 v25, 16, v19
	v_lshrrev_b32_e32 v26, 16, v20
	s_waitcnt lgkmcnt(1)
	v_lshrrev_b32_e32 v41, 16, v22
	;; [unrolled: 3-line block ×3, first 2 shown]
	s_movk_i32 s1, 0x39e0
	s_mov_b32 s12, 0xb9e0
	s_movk_i32 s13, 0x3b00
	s_movk_i32 s14, 0x3574
	s_mov_b32 s16, 0xb574
	s_mov_b32 s15, 0xbcab
	s_movk_i32 s17, 0x370e
	v_mul_u32_u24_e32 v7, 42, v7
	v_add_u32_sdwa v7, v7, v12 dst_sel:DWORD dst_unused:UNUSED_PAD src0_sel:DWORD src1_sel:BYTE_0
	s_waitcnt vmcnt(0)
	s_barrier
	v_lshlrev_b32_e32 v12, 2, v6
	v_mul_f16_sdwa v44, v25, v1 dst_sel:DWORD dst_unused:UNUSED_PAD src0_sel:DWORD src1_sel:WORD_1
	v_mul_f16_sdwa v45, v19, v1 dst_sel:DWORD dst_unused:UNUSED_PAD src0_sel:DWORD src1_sel:WORD_1
	;; [unrolled: 1-line block ×12, first 2 shown]
	v_fma_f16 v19, v19, v1, -v44
	v_fma_f16 v20, v20, v2, -v46
	;; [unrolled: 1-line block ×4, first 2 shown]
	v_fma_f16 v25, v25, v1, v45
	v_fma_f16 v24, v24, v0, v52
	;; [unrolled: 1-line block ×4, first 2 shown]
	v_fma_f16 v5, v5, v0, -v53
	v_fma_f16 v42, v42, v17, v51
	v_fma_f16 v15, v15, v18, -v54
	v_fma_f16 v43, v43, v18, v55
	v_add_f16_e32 v44, v5, v15
	v_add_f16_e32 v45, v24, v43
	v_sub_f16_e32 v5, v5, v15
	v_sub_f16_e32 v15, v24, v43
	v_add_f16_e32 v24, v19, v23
	v_add_f16_e32 v43, v25, v42
	v_sub_f16_e32 v19, v19, v23
	v_sub_f16_e32 v23, v25, v42
	;; [unrolled: 4-line block ×4, first 2 shown]
	v_sub_f16_e32 v24, v25, v24
	v_sub_f16_e32 v47, v43, v45
	;; [unrolled: 1-line block ×4, first 2 shown]
	v_add_f16_e32 v48, v20, v19
	v_sub_f16_e32 v49, v20, v19
	v_sub_f16_e32 v19, v19, v5
	v_add_f16_e32 v25, v25, v26
	v_add_f16_e32 v26, v42, v41
	v_mul_f16_e32 v41, 0x3a52, v44
	v_mul_f16_e32 v42, 0x2b26, v24
	;; [unrolled: 1-line block ×4, first 2 shown]
	v_sub_f16_e32 v20, v5, v20
	v_sub_f16_e32 v51, v22, v23
	v_fma_f16 v24, v24, s0, v41
	v_fma_f16 v42, v46, s1, -v42
	v_fma_f16 v41, v46, s12, -v41
	v_fma_f16 v43, v43, s0, v44
	v_fma_f16 v45, v47, s1, -v45
	v_fma_f16 v44, v47, s12, -v44
	v_mul_f16_e32 v46, 0xb846, v49
	v_mul_f16_e32 v47, 0x3b00, v19
	v_add_f16_e32 v50, v22, v23
	v_sub_f16_e32 v22, v15, v22
	v_sub_f16_e32 v23, v23, v15
	v_add_f16_e32 v5, v48, v5
	v_add_f16_e32 v48, v4, v25
	v_add_f16_sdwa v4, v4, v26 dst_sel:DWORD dst_unused:UNUSED_PAD src0_sel:WORD_1 src1_sel:DWORD
	v_fma_f16 v19, v19, s13, -v46
	v_fma_f16 v46, v20, s14, v46
	v_fma_f16 v20, v20, s16, -v47
	v_mul_f16_e32 v47, 0xb846, v51
	v_add_f16_e32 v15, v50, v15
	v_mul_f16_e32 v49, 0x3b00, v23
	v_fma_f16 v23, v23, s13, -v47
	v_fma_f16 v47, v22, s14, v47
	v_fma_f16 v25, v25, s15, v48
	;; [unrolled: 1-line block ×3, first 2 shown]
	v_fma_f16 v22, v22, s16, -v49
	v_add_f16_e32 v24, v24, v25
	v_add_f16_e32 v42, v42, v25
	;; [unrolled: 1-line block ×6, first 2 shown]
	v_fma_f16 v44, v5, s17, v46
	v_fma_f16 v45, v15, s17, v47
	;; [unrolled: 1-line block ×6, first 2 shown]
	v_add_f16_e32 v20, v45, v24
	v_sub_f16_e32 v22, v41, v44
	v_sub_f16_e32 v46, v42, v23
	v_add_f16_e32 v23, v23, v42
	v_add_f16_e32 v42, v19, v43
	v_sub_f16_e32 v19, v43, v19
	v_add_f16_e32 v43, v15, v25
	v_sub_f16_e32 v25, v25, v15
	v_sub_f16_e32 v47, v26, v5
	v_lshl_add_u32 v15, v7, 2, v35
	v_pack_b32_f16 v4, v48, v4
	v_pack_b32_f16 v7, v20, v22
	v_add_f16_e32 v5, v5, v26
	ds_write2_b32 v15, v4, v7 offset1:6
	v_pack_b32_f16 v4, v43, v47
	v_pack_b32_f16 v7, v46, v42
	v_sub_f16_e32 v24, v24, v45
	v_add_f16_e32 v26, v44, v41
	ds_write2_b32 v15, v4, v7 offset0:12 offset1:18
	v_pack_b32_f16 v4, v23, v19
	v_pack_b32_f16 v5, v25, v5
	ds_write2_b32 v15, v4, v5 offset0:24 offset1:30
	v_pack_b32_f16 v4, v24, v26
	ds_write_b32 v15, v4 offset:144
	s_waitcnt lgkmcnt(0)
	s_barrier
	global_load_dwordx4 v[4:7], v12, s[4:5] offset:144
	global_load_dwordx2 v[19:20], v12, s[4:5] offset:160
	ds_read2_b32 v[22:23], v27 offset0:84 offset1:126
	ds_read2_b32 v[24:25], v27 offset0:168 offset1:210
	ds_read2_b32 v[41:42], v27 offset1:42
	ds_read_b32 v12, v27 offset:1008
	s_add_u32 s4, s2, 0x498
	s_waitcnt lgkmcnt(3)
	v_lshrrev_b32_e32 v26, 16, v22
	s_waitcnt lgkmcnt(2)
	v_lshrrev_b32_e32 v45, 16, v25
	v_lshrrev_b32_e32 v43, 16, v23
	;; [unrolled: 1-line block ×3, first 2 shown]
	s_addc_u32 s5, s3, 0
	s_waitcnt vmcnt(1)
	v_mul_f16_sdwa v46, v26, v5 dst_sel:DWORD dst_unused:UNUSED_PAD src0_sel:DWORD src1_sel:WORD_1
	v_mul_f16_sdwa v47, v22, v5 dst_sel:DWORD dst_unused:UNUSED_PAD src0_sel:DWORD src1_sel:WORD_1
	s_waitcnt vmcnt(0)
	v_mul_f16_sdwa v52, v45, v19 dst_sel:DWORD dst_unused:UNUSED_PAD src0_sel:DWORD src1_sel:WORD_1
	v_fma_f16 v22, v22, v5, -v46
	v_fma_f16 v26, v26, v5, v47
	v_fma_f16 v46, v25, v19, -v52
	v_mul_f16_sdwa v25, v25, v19 dst_sel:DWORD dst_unused:UNUSED_PAD src0_sel:DWORD src1_sel:WORD_1
	s_waitcnt lgkmcnt(0)
	v_lshrrev_b32_e32 v47, 16, v12
	v_fma_f16 v25, v45, v19, v25
	v_mul_f16_sdwa v45, v47, v20 dst_sel:DWORD dst_unused:UNUSED_PAD src0_sel:DWORD src1_sel:WORD_1
	v_mul_f16_sdwa v48, v43, v6 dst_sel:DWORD dst_unused:UNUSED_PAD src0_sel:DWORD src1_sel:WORD_1
	v_fma_f16 v45, v12, v20, -v45
	v_mul_f16_sdwa v12, v12, v20 dst_sel:DWORD dst_unused:UNUSED_PAD src0_sel:DWORD src1_sel:WORD_1
	v_mul_f16_sdwa v49, v23, v6 dst_sel:DWORD dst_unused:UNUSED_PAD src0_sel:DWORD src1_sel:WORD_1
	v_fma_f16 v23, v23, v6, -v48
	v_fma_f16 v12, v47, v20, v12
	v_lshrrev_b32_e32 v47, 16, v42
	v_mul_f16_sdwa v48, v42, v4 dst_sel:DWORD dst_unused:UNUSED_PAD src0_sel:DWORD src1_sel:WORD_1
	v_fma_f16 v48, v47, v4, v48
	v_mul_f16_sdwa v47, v47, v4 dst_sel:DWORD dst_unused:UNUSED_PAD src0_sel:DWORD src1_sel:WORD_1
	v_mul_f16_sdwa v50, v44, v7 dst_sel:DWORD dst_unused:UNUSED_PAD src0_sel:DWORD src1_sel:WORD_1
	;; [unrolled: 1-line block ×3, first 2 shown]
	v_fma_f16 v42, v42, v4, -v47
	v_fma_f16 v43, v43, v6, v49
	v_fma_f16 v44, v44, v7, v51
	v_fma_f16 v24, v24, v7, -v50
	v_add_f16_e32 v47, v42, v45
	v_sub_f16_e32 v42, v42, v45
	v_add_f16_e32 v45, v48, v12
	v_sub_f16_e32 v12, v48, v12
	;; [unrolled: 2-line block ×7, first 2 shown]
	v_sub_f16_e32 v47, v47, v26
	v_sub_f16_e32 v48, v26, v48
	v_add_f16_e32 v26, v26, v44
	v_add_f16_e32 v44, v46, v45
	v_sub_f16_e32 v50, v46, v45
	v_sub_f16_e32 v45, v45, v24
	v_sub_f16_e32 v46, v24, v46
	v_add_f16_e32 v24, v24, v44
	v_add_f16_e32 v44, v23, v22
	v_sub_f16_e32 v51, v23, v22
	;; [unrolled: 5-line block ×3, first 2 shown]
	v_sub_f16_e32 v43, v12, v43
	v_sub_f16_e32 v25, v25, v12
	v_add_f16_e32 v12, v44, v12
	v_add_f16_e32 v44, v41, v26
	v_add_f16_sdwa v53, v41, v24 dst_sel:DWORD dst_unused:UNUSED_PAD src0_sel:WORD_1 src1_sel:DWORD
	v_mul_f16_e32 v41, 0x3a52, v47
	v_mul_f16_e32 v47, 0x2b26, v48
	v_fma_f16 v48, v48, s0, v41
	v_fma_f16 v47, v49, s1, -v47
	v_fma_f16 v41, v49, s12, -v41
	v_mul_f16_e32 v45, 0x3a52, v45
	v_mul_f16_e32 v49, 0x2b26, v46
	v_fma_f16 v46, v46, s0, v45
	v_fma_f16 v49, v50, s1, -v49
	v_fma_f16 v45, v50, s12, -v45
	v_mul_f16_e32 v50, 0xb846, v51
	v_mul_f16_e32 v51, 0x3b00, v22
	v_fma_f16 v22, v22, s13, -v50
	v_fma_f16 v50, v23, s14, v50
	v_fma_f16 v23, v23, s16, -v51
	v_mul_f16_e32 v51, 0xb846, v52
	v_mul_f16_e32 v52, 0x3b00, v25
	v_fma_f16 v25, v25, s13, -v51
	v_fma_f16 v51, v43, s14, v51
	v_fma_f16 v43, v43, s16, -v52
	v_fma_f16 v26, v26, s15, v44
	v_fma_f16 v24, v24, s15, v53
	v_add_f16_e32 v48, v48, v26
	v_add_f16_e32 v47, v47, v26
	;; [unrolled: 1-line block ×6, first 2 shown]
	v_fma_f16 v45, v42, s17, v50
	v_fma_f16 v22, v42, s17, v22
	;; [unrolled: 1-line block ×6, first 2 shown]
	v_sub_f16_e32 v43, v47, v25
	v_add_f16_e32 v25, v25, v47
	v_add_f16_e32 v47, v22, v41
	v_sub_f16_e32 v22, v41, v22
	v_add_f16_e32 v49, v12, v26
	v_sub_f16_e32 v12, v26, v12
	v_sub_f16_e32 v26, v24, v23
	v_add_f16_e32 v23, v23, v24
	v_add_f16_e32 v24, v42, v48
	v_sub_f16_e32 v41, v48, v42
	v_sub_f16_e32 v48, v46, v45
	v_add_f16_e32 v42, v45, v46
	v_pack_b32_f16 v44, v44, v53
	v_pack_b32_f16 v24, v24, v48
	;; [unrolled: 1-line block ×4, first 2 shown]
	ds_write2_b32 v27, v44, v24 offset1:42
	v_pack_b32_f16 v24, v49, v26
	v_pack_b32_f16 v26, v43, v47
	ds_write2_b32 v27, v22, v12 offset0:168 offset1:210
	v_pack_b32_f16 v12, v41, v42
	ds_write2_b32 v27, v24, v26 offset0:84 offset1:126
	ds_write_b32 v27, v12 offset:1008
	s_waitcnt lgkmcnt(0)
	s_barrier
	global_load_dword v12, v[8:9], off offset:1176
	global_load_dword v26, v21, s[4:5] offset:196
	global_load_dword v43, v21, s[4:5] offset:392
	;; [unrolled: 1-line block ×5, first 2 shown]
	ds_read2_b32 v[22:23], v27 offset1:49
	s_waitcnt lgkmcnt(0)
	v_lshrrev_b32_e32 v24, 16, v22
	s_waitcnt vmcnt(5)
	v_mul_f16_sdwa v25, v24, v12 dst_sel:DWORD dst_unused:UNUSED_PAD src0_sel:DWORD src1_sel:WORD_1
	v_fma_f16 v25, v22, v12, -v25
	v_mul_f16_sdwa v22, v22, v12 dst_sel:DWORD dst_unused:UNUSED_PAD src0_sel:DWORD src1_sel:WORD_1
	v_fma_f16 v12, v24, v12, v22
	v_lshrrev_b32_e32 v22, 16, v23
	s_waitcnt vmcnt(4)
	v_mul_f16_sdwa v24, v22, v26 dst_sel:DWORD dst_unused:UNUSED_PAD src0_sel:DWORD src1_sel:WORD_1
	v_pack_b32_f16 v12, v25, v12
	v_fma_f16 v47, v23, v26, -v24
	ds_read2_b32 v[24:25], v27 offset0:98 offset1:147
	v_mul_f16_sdwa v23, v23, v26 dst_sel:DWORD dst_unused:UNUSED_PAD src0_sel:DWORD src1_sel:WORD_1
	v_fma_f16 v22, v22, v26, v23
	v_pack_b32_f16 v22, v47, v22
	ds_write2_b32 v27, v12, v22 offset1:49
	s_waitcnt lgkmcnt(1)
	v_lshrrev_b32_e32 v12, 16, v24
	s_waitcnt vmcnt(3)
	v_mul_f16_sdwa v22, v12, v43 dst_sel:DWORD dst_unused:UNUSED_PAD src0_sel:DWORD src1_sel:WORD_1
	v_mul_f16_sdwa v23, v24, v43 dst_sel:DWORD dst_unused:UNUSED_PAD src0_sel:DWORD src1_sel:WORD_1
	v_fma_f16 v22, v24, v43, -v22
	v_fma_f16 v12, v12, v43, v23
	v_lshrrev_b32_e32 v24, 16, v25
	v_pack_b32_f16 v12, v22, v12
	s_waitcnt vmcnt(2)
	v_mul_f16_sdwa v22, v24, v44 dst_sel:DWORD dst_unused:UNUSED_PAD src0_sel:DWORD src1_sel:WORD_1
	v_fma_f16 v26, v25, v44, -v22
	ds_read2_b32 v[22:23], v27 offset0:196 offset1:245
	v_mul_f16_sdwa v25, v25, v44 dst_sel:DWORD dst_unused:UNUSED_PAD src0_sel:DWORD src1_sel:WORD_1
	v_fma_f16 v24, v24, v44, v25
	v_pack_b32_f16 v24, v26, v24
	ds_write2_b32 v27, v12, v24 offset0:98 offset1:147
	s_waitcnt lgkmcnt(1)
	v_lshrrev_b32_e32 v12, 16, v22
	s_waitcnt vmcnt(1)
	v_mul_f16_sdwa v24, v12, v45 dst_sel:DWORD dst_unused:UNUSED_PAD src0_sel:DWORD src1_sel:WORD_1
	v_fma_f16 v24, v22, v45, -v24
	v_mul_f16_sdwa v22, v22, v45 dst_sel:DWORD dst_unused:UNUSED_PAD src0_sel:DWORD src1_sel:WORD_1
	v_fma_f16 v12, v12, v45, v22
	v_lshrrev_b32_e32 v22, 16, v23
	v_pack_b32_f16 v12, v24, v12
	s_waitcnt vmcnt(0)
	v_mul_f16_sdwa v24, v22, v46 dst_sel:DWORD dst_unused:UNUSED_PAD src0_sel:DWORD src1_sel:WORD_1
	v_fma_f16 v24, v23, v46, -v24
	v_mul_f16_sdwa v23, v23, v46 dst_sel:DWORD dst_unused:UNUSED_PAD src0_sel:DWORD src1_sel:WORD_1
	v_fma_f16 v22, v22, v46, v23
	v_pack_b32_f16 v22, v24, v22
	ds_write2_b32 v27, v12, v22 offset0:196 offset1:245
	s_and_saveexec_b64 s[2:3], vcc
	s_cbranch_execz .LBB0_9
; %bb.8:
	v_add_co_u32_e64 v21, s[0:1], s4, v21
	v_mov_b32_e32 v12, s5
	v_addc_co_u32_e64 v22, s[0:1], 0, v12, s[0:1]
	global_load_dword v25, v[21:22], off offset:168
	ds_read2_b32 v[23:24], v27 offset0:42 offset1:91
	s_waitcnt lgkmcnt(0)
	v_lshrrev_b32_e32 v12, 16, v23
	s_waitcnt vmcnt(0)
	v_mul_f16_sdwa v26, v12, v25 dst_sel:DWORD dst_unused:UNUSED_PAD src0_sel:DWORD src1_sel:WORD_1
	v_fma_f16 v26, v23, v25, -v26
	v_mul_f16_sdwa v23, v23, v25 dst_sel:DWORD dst_unused:UNUSED_PAD src0_sel:DWORD src1_sel:WORD_1
	v_fma_f16 v12, v12, v25, v23
	global_load_dword v25, v[21:22], off offset:364
	v_lshrrev_b32_e32 v23, 16, v24
	v_pack_b32_f16 v12, v26, v12
	s_waitcnt vmcnt(0)
	v_mul_f16_sdwa v26, v23, v25 dst_sel:DWORD dst_unused:UNUSED_PAD src0_sel:DWORD src1_sel:WORD_1
	v_fma_f16 v26, v24, v25, -v26
	v_mul_f16_sdwa v24, v24, v25 dst_sel:DWORD dst_unused:UNUSED_PAD src0_sel:DWORD src1_sel:WORD_1
	v_fma_f16 v23, v23, v25, v24
	global_load_dword v25, v[21:22], off offset:560
	v_pack_b32_f16 v23, v26, v23
	ds_write2_b32 v27, v12, v23 offset0:42 offset1:91
	ds_read2_b32 v[23:24], v27 offset0:140 offset1:189
	s_waitcnt lgkmcnt(0)
	v_lshrrev_b32_e32 v12, 16, v23
	s_waitcnt vmcnt(0)
	v_mul_f16_sdwa v26, v12, v25 dst_sel:DWORD dst_unused:UNUSED_PAD src0_sel:DWORD src1_sel:WORD_1
	v_fma_f16 v26, v23, v25, -v26
	v_mul_f16_sdwa v23, v23, v25 dst_sel:DWORD dst_unused:UNUSED_PAD src0_sel:DWORD src1_sel:WORD_1
	v_fma_f16 v12, v12, v25, v23
	global_load_dword v25, v[21:22], off offset:756
	v_lshrrev_b32_e32 v23, 16, v24
	v_pack_b32_f16 v12, v26, v12
	s_waitcnt vmcnt(0)
	v_mul_f16_sdwa v26, v23, v25 dst_sel:DWORD dst_unused:UNUSED_PAD src0_sel:DWORD src1_sel:WORD_1
	v_fma_f16 v26, v24, v25, -v26
	v_mul_f16_sdwa v24, v24, v25 dst_sel:DWORD dst_unused:UNUSED_PAD src0_sel:DWORD src1_sel:WORD_1
	v_fma_f16 v23, v23, v25, v24
	v_pack_b32_f16 v23, v26, v23
	global_load_dword v26, v[21:22], off offset:952
	ds_write2_b32 v27, v12, v23 offset0:140 offset1:189
	global_load_dword v21, v[21:22], off offset:1148
	v_add_u32_e32 v12, 0x200, v27
	ds_read2_b32 v[23:24], v12 offset0:110 offset1:159
	s_waitcnt lgkmcnt(0)
	v_lshrrev_b32_e32 v25, 16, v23
	s_waitcnt vmcnt(1)
	v_mul_f16_sdwa v43, v25, v26 dst_sel:DWORD dst_unused:UNUSED_PAD src0_sel:DWORD src1_sel:WORD_1
	v_fma_f16 v43, v23, v26, -v43
	v_mul_f16_sdwa v23, v23, v26 dst_sel:DWORD dst_unused:UNUSED_PAD src0_sel:DWORD src1_sel:WORD_1
	v_fma_f16 v23, v25, v26, v23
	v_lshrrev_b32_e32 v25, 16, v24
	s_waitcnt vmcnt(0)
	v_mul_f16_sdwa v22, v25, v21 dst_sel:DWORD dst_unused:UNUSED_PAD src0_sel:DWORD src1_sel:WORD_1
	v_fma_f16 v22, v24, v21, -v22
	v_mul_f16_sdwa v24, v24, v21 dst_sel:DWORD dst_unused:UNUSED_PAD src0_sel:DWORD src1_sel:WORD_1
	v_fma_f16 v21, v25, v21, v24
	v_pack_b32_f16 v23, v43, v23
	v_pack_b32_f16 v21, v22, v21
	ds_write2_b32 v12, v23, v21 offset0:110 offset1:159
.LBB0_9:
	s_or_b64 exec, exec, s[2:3]
	s_waitcnt lgkmcnt(0)
	s_barrier
	ds_read2_b32 v[21:22], v27 offset1:49
	ds_read2_b32 v[23:24], v27 offset0:98 offset1:147
	ds_read2_b32 v[25:26], v27 offset0:196 offset1:245
	v_lshrrev_b32_e32 v12, 16, v37
	s_and_saveexec_b64 s[0:1], vcc
	s_cbranch_execz .LBB0_11
; %bb.10:
	v_lshl_add_u32 v16, v32, 2, v35
	ds_read_b32 v41, v27 offset:168
	ds_read2_b32 v[11:12], v16 offset0:91 offset1:140
	ds_read2_b32 v[13:14], v16 offset0:189 offset1:238
	ds_read_b32 v16, v16 offset:1148
	s_waitcnt lgkmcnt(3)
	v_lshrrev_b32_e32 v42, 16, v41
	s_waitcnt lgkmcnt(2)
	v_lshrrev_b32_e32 v37, 16, v11
	v_lshrrev_b32_e32 v36, 16, v12
	s_waitcnt lgkmcnt(1)
	v_lshrrev_b32_e32 v38, 16, v14
.LBB0_11:
	s_or_b64 exec, exec, s[0:1]
	s_waitcnt lgkmcnt(0)
	v_pk_add_f16 v46, v23, v25
	v_pk_add_f16 v43, v21, v23
	v_pk_fma_f16 v21, v46, 0.5, v21 op_sel_hi:[1,0,1] neg_lo:[1,0,0] neg_hi:[1,0,0]
	v_pk_add_f16 v23, v23, v25 neg_lo:[0,1] neg_hi:[0,1]
	s_movk_i32 s2, 0x3aee
	v_pk_add_f16 v45, v43, v25
	v_pk_fma_f16 v25, v23, s2, v21 op_sel:[0,0,1] op_sel_hi:[1,0,0] neg_lo:[1,0,0] neg_hi:[1,0,0]
	v_pk_fma_f16 v23, v23, s2, v21 op_sel:[0,0,1] op_sel_hi:[1,0,0]
	v_pk_add_f16 v21, v24, v26
	v_pk_add_f16 v44, v22, v24
	v_pk_fma_f16 v21, v21, 0.5, v22 op_sel_hi:[1,0,1] neg_lo:[1,0,0] neg_hi:[1,0,0]
	v_pk_add_f16 v22, v24, v26 neg_lo:[0,1] neg_hi:[0,1]
	v_pk_fma_f16 v24, v22, s2, v21 op_sel:[0,0,1] op_sel_hi:[1,0,0]
	v_pk_fma_f16 v21, v22, s2, v21 op_sel:[0,0,1] op_sel_hi:[1,0,0] neg_lo:[1,0,0] neg_hi:[1,0,0]
	v_pk_add_f16 v44, v44, v26
	v_lshrrev_b32_e32 v22, 16, v21
	v_mul_f16_e32 v26, 0x3aee, v24
	v_fma_f16 v26, v22, 0.5, -v26
	v_pk_mul_f16 v22, v21, s2 op_sel_hi:[1,0]
	s_mov_b32 s0, 0xb8003800
	v_pk_fma_f16 v47, v24, s0, v22 op_sel:[0,0,1] op_sel_hi:[1,1,0]
	v_pk_fma_f16 v48, v24, s0, v22 op_sel:[0,0,1] op_sel_hi:[1,1,0] neg_lo:[0,0,1] neg_hi:[0,0,1]
	s_mov_b32 s0, 0xffff
	v_bfi_b32 v22, s0, v47, v48
	v_pk_add_f16 v49, v23, v22
	v_lshrrev_b32_e32 v22, 16, v24
	v_mul_f16_e32 v21, -0.5, v21
	v_fma_f16 v24, v22, s2, v21
	v_add_f16_sdwa v46, v25, v26 dst_sel:DWORD dst_unused:UNUSED_PAD src0_sel:WORD_1 src1_sel:DWORD
	v_add_f16_e32 v21, v25, v24
	v_pk_add_f16 v43, v45, v44
	v_pk_add_f16 v22, v45, v44 neg_lo:[0,1] neg_hi:[0,1]
	v_alignbit_b32 v21, v21, v49, 16
	v_pack_b32_f16 v44, v46, v49
	s_barrier
	ds_write2_b64 v39, v[43:44], v[21:22] offset1:1
	v_alignbit_b32 v21, v23, v25, 16
	v_pack_b32_f16 v22, v26, v47
	v_pk_add_f16 v21, v21, v22 neg_lo:[0,1] neg_hi:[0,1]
	v_alignbit_b32 v22, v25, v23, 16
	v_alignbit_b32 v23, v24, v48, 16
	v_pk_add_f16 v22, v22, v23 neg_lo:[0,1] neg_hi:[0,1]
	ds_write_b64 v39, v[21:22] offset:16
	s_and_saveexec_b64 s[0:1], vcc
	s_cbranch_execz .LBB0_13
; %bb.12:
	v_add_f16_e32 v21, v36, v38
	v_add_f16_e32 v24, v13, v16
	v_add_f16_sdwa v39, v13, v16 dst_sel:DWORD dst_unused:UNUSED_PAD src0_sel:WORD_1 src1_sel:WORD_1
	v_fma_f16 v21, v21, -0.5, v42
	v_sub_f16_e32 v22, v12, v14
	s_mov_b32 s3, 0xbaee
	v_fma_f16 v24, v24, -0.5, v11
	v_sub_f16_sdwa v25, v13, v16 dst_sel:DWORD dst_unused:UNUSED_PAD src0_sel:WORD_1 src1_sel:WORD_1
	v_fma_f16 v39, v39, -0.5, v37
	v_sub_f16_e32 v43, v13, v16
	v_fma_f16 v23, v22, s3, v21
	v_fma_f16 v26, v25, s2, v24
	;; [unrolled: 1-line block ×6, first 2 shown]
	v_add_f16_e32 v47, v12, v14
	v_mul_f16_e32 v45, -0.5, v44
	v_mul_f16_e32 v25, 0.5, v24
	v_add_f16_e32 v42, v42, v36
	v_add_f16_sdwa v37, v37, v13 dst_sel:DWORD dst_unused:UNUSED_PAD src0_sel:DWORD src1_sel:WORD_1
	v_fma_f16 v47, v47, -0.5, v41
	v_sub_f16_e32 v36, v36, v38
	v_mul_f16_e32 v44, 0xbaee, v44
	v_mul_f16_e32 v24, 0xbaee, v24
	v_add_f16_e32 v12, v41, v12
	v_add_f16_e32 v11, v11, v13
	v_fma_f16 v45, v26, s2, v45
	v_fma_f16 v25, v22, s2, v25
	v_add_f16_e32 v42, v42, v38
	v_add_f16_sdwa v37, v37, v16 dst_sel:DWORD dst_unused:UNUSED_PAD src0_sel:DWORD src1_sel:WORD_1
	v_fma_f16 v38, v36, s2, v47
	v_fma_f16 v26, v26, -0.5, v44
	v_fma_f16 v36, v36, s3, v47
	v_fma_f16 v22, v22, 0.5, v24
	v_add_f16_e32 v12, v12, v14
	v_add_f16_e32 v11, v11, v16
	v_sub_f16_e32 v46, v23, v45
	v_sub_f16_e32 v39, v21, v25
	;; [unrolled: 1-line block ×5, first 2 shown]
	v_add_f16_e32 v14, v23, v45
	v_add_f16_e32 v16, v21, v25
	;; [unrolled: 1-line block ×6, first 2 shown]
	v_sub_f16_e32 v44, v38, v26
	v_lshl_add_u32 v26, v40, 2, v35
	v_pack_b32_f16 v11, v23, v14
	v_pack_b32_f16 v14, v22, v16
	;; [unrolled: 1-line block ×4, first 2 shown]
	ds_write2_b64 v26, v[13:14], v[11:12] offset1:1
	v_pack_b32_f16 v12, v44, v46
	v_pack_b32_f16 v11, v24, v39
	ds_write_b64 v26, v[11:12] offset:16
.LBB0_13:
	s_or_b64 exec, exec, s[0:1]
	s_waitcnt lgkmcnt(0)
	s_barrier
	ds_read2_b32 v[11:12], v27 offset1:42
	ds_read2_b32 v[13:14], v27 offset0:84 offset1:126
	ds_read2_b32 v[21:22], v27 offset0:168 offset1:210
	ds_read_b32 v23, v27 offset:1008
	s_movk_i32 s0, 0x2b26
	s_waitcnt lgkmcnt(3)
	v_lshrrev_b32_e32 v16, 16, v12
	v_mul_f16_sdwa v37, v0, v16 dst_sel:DWORD dst_unused:UNUSED_PAD src0_sel:WORD_1 src1_sel:DWORD
	s_waitcnt lgkmcnt(2)
	v_lshrrev_b32_e32 v24, 16, v13
	v_fma_f16 v37, v0, v12, v37
	v_mul_f16_sdwa v12, v0, v12 dst_sel:DWORD dst_unused:UNUSED_PAD src0_sel:WORD_1 src1_sel:DWORD
	v_fma_f16 v0, v0, v16, -v12
	v_mul_f16_sdwa v12, v1, v24 dst_sel:DWORD dst_unused:UNUSED_PAD src0_sel:WORD_1 src1_sel:DWORD
	v_lshrrev_b32_e32 v25, 16, v14
	v_fma_f16 v12, v1, v13, v12
	v_mul_f16_sdwa v13, v1, v13 dst_sel:DWORD dst_unused:UNUSED_PAD src0_sel:WORD_1 src1_sel:DWORD
	v_fma_f16 v1, v1, v24, -v13
	v_mul_f16_sdwa v13, v2, v25 dst_sel:DWORD dst_unused:UNUSED_PAD src0_sel:WORD_1 src1_sel:DWORD
	s_waitcnt lgkmcnt(1)
	v_lshrrev_b32_e32 v26, 16, v21
	v_fma_f16 v13, v2, v14, v13
	v_mul_f16_sdwa v14, v2, v14 dst_sel:DWORD dst_unused:UNUSED_PAD src0_sel:WORD_1 src1_sel:DWORD
	v_lshrrev_b32_e32 v35, 16, v22
	v_fma_f16 v2, v2, v25, -v14
	v_mul_f16_sdwa v14, v3, v26 dst_sel:DWORD dst_unused:UNUSED_PAD src0_sel:WORD_1 src1_sel:DWORD
	v_mul_f16_sdwa v16, v3, v21 dst_sel:DWORD dst_unused:UNUSED_PAD src0_sel:WORD_1 src1_sel:DWORD
	s_waitcnt lgkmcnt(0)
	v_lshrrev_b32_e32 v36, 16, v23
	v_fma_f16 v14, v3, v21, v14
	v_fma_f16 v3, v3, v26, -v16
	v_mul_f16_sdwa v16, v17, v35 dst_sel:DWORD dst_unused:UNUSED_PAD src0_sel:WORD_1 src1_sel:DWORD
	v_mul_f16_sdwa v21, v17, v22 dst_sel:DWORD dst_unused:UNUSED_PAD src0_sel:WORD_1 src1_sel:DWORD
	v_fma_f16 v16, v17, v22, v16
	v_fma_f16 v17, v17, v35, -v21
	v_mul_f16_sdwa v21, v18, v36 dst_sel:DWORD dst_unused:UNUSED_PAD src0_sel:WORD_1 src1_sel:DWORD
	v_mul_f16_sdwa v22, v18, v23 dst_sel:DWORD dst_unused:UNUSED_PAD src0_sel:WORD_1 src1_sel:DWORD
	v_fma_f16 v21, v18, v23, v21
	v_fma_f16 v18, v18, v36, -v22
	v_add_f16_e32 v22, v37, v21
	v_add_f16_e32 v23, v0, v18
	v_sub_f16_e32 v0, v0, v18
	v_add_f16_e32 v18, v12, v16
	v_add_f16_e32 v24, v1, v17
	v_sub_f16_e32 v21, v37, v21
	v_sub_f16_e32 v12, v12, v16
	;; [unrolled: 1-line block ×3, first 2 shown]
	v_add_f16_e32 v16, v13, v14
	v_add_f16_e32 v17, v2, v3
	v_sub_f16_e32 v13, v14, v13
	v_sub_f16_e32 v2, v3, v2
	v_add_f16_e32 v3, v18, v22
	v_add_f16_e32 v14, v24, v23
	v_sub_f16_e32 v25, v18, v22
	v_sub_f16_e32 v26, v24, v23
	;; [unrolled: 1-line block ×6, first 2 shown]
	v_add_f16_e32 v35, v13, v12
	v_add_f16_e32 v36, v2, v1
	v_sub_f16_e32 v37, v13, v12
	v_sub_f16_e32 v38, v2, v1
	;; [unrolled: 1-line block ×4, first 2 shown]
	v_add_f16_e32 v3, v16, v3
	v_add_f16_e32 v14, v17, v14
	v_sub_f16_e32 v13, v21, v13
	v_sub_f16_e32 v2, v0, v2
	v_add_f16_e32 v16, v35, v21
	v_add_f16_e32 v0, v36, v0
	;; [unrolled: 1-line block ×3, first 2 shown]
	v_add_f16_sdwa v11, v11, v14 dst_sel:DWORD dst_unused:UNUSED_PAD src0_sel:WORD_1 src1_sel:DWORD
	v_mul_f16_e32 v21, 0x3a52, v22
	v_mul_f16_e32 v22, 0x3a52, v23
	v_mul_f16_e32 v23, 0x2b26, v18
	v_mul_f16_e32 v35, 0x2b26, v24
	v_mul_f16_e32 v36, 0x3846, v37
	v_mul_f16_e32 v37, 0x3846, v38
	s_mov_b32 s1, 0xbb00
	v_mul_f16_e32 v38, 0xbb00, v12
	v_mul_f16_e32 v39, 0xbb00, v1
	s_mov_b32 s2, 0xbcab
	s_movk_i32 s3, 0x39e0
	s_mov_b32 s4, 0xb9e0
	s_mov_b32 s5, 0xb574
	s_movk_i32 s12, 0x3574
	v_fma_f16 v3, v3, s2, v17
	v_fma_f16 v14, v14, s2, v11
	;; [unrolled: 1-line block ×4, first 2 shown]
	v_fma_f16 v23, v25, s3, -v23
	v_fma_f16 v35, v26, s3, -v35
	v_fma_f16 v21, v25, s4, -v21
	v_fma_f16 v22, v26, s4, -v22
	v_fma_f16 v25, v13, s5, v36
	v_fma_f16 v26, v2, s5, v37
	v_fma_f16 v12, v12, s1, -v36
	v_fma_f16 v1, v1, s1, -v37
	;; [unrolled: 1-line block ×4, first 2 shown]
	s_mov_b32 s13, 0xb70e
	v_add_f16_e32 v18, v18, v3
	v_add_f16_e32 v24, v24, v14
	;; [unrolled: 1-line block ×6, first 2 shown]
	v_fma_f16 v21, v16, s13, v25
	v_fma_f16 v22, v0, s13, v26
	;; [unrolled: 1-line block ×6, first 2 shown]
	v_add_f16_e32 v2, v22, v18
	v_sub_f16_e32 v16, v24, v21
	v_add_f16_e32 v25, v0, v3
	v_sub_f16_e32 v36, v23, v1
	v_add_f16_e32 v37, v12, v35
	v_add_f16_e32 v1, v1, v23
	v_sub_f16_e32 v12, v35, v12
	v_sub_f16_e32 v0, v3, v0
	v_add_f16_e32 v3, v13, v14
	v_sub_f16_e32 v26, v14, v13
	v_sub_f16_e32 v13, v18, v22
	v_add_f16_e32 v14, v21, v24
	v_pack_b32_f16 v11, v17, v11
	v_pack_b32_f16 v2, v2, v16
	;; [unrolled: 1-line block ×4, first 2 shown]
	s_barrier
	ds_write2_b32 v15, v11, v2 offset1:6
	v_pack_b32_f16 v2, v25, v26
	v_pack_b32_f16 v11, v36, v37
	ds_write2_b32 v15, v1, v0 offset0:24 offset1:30
	v_pack_b32_f16 v0, v13, v14
	ds_write2_b32 v15, v2, v11 offset0:12 offset1:18
	ds_write_b32 v15, v0 offset:144
	s_waitcnt lgkmcnt(0)
	s_barrier
	ds_read2_b32 v[0:1], v27 offset1:42
	ds_read2_b32 v[2:3], v27 offset0:84 offset1:126
	ds_read2_b32 v[11:12], v27 offset0:168 offset1:210
	ds_read_b32 v14, v27 offset:1008
	s_movk_i32 s14, 0x40f
	s_waitcnt lgkmcnt(3)
	v_lshrrev_b32_e32 v13, 16, v1
	v_mul_f16_sdwa v22, v4, v13 dst_sel:DWORD dst_unused:UNUSED_PAD src0_sel:WORD_1 src1_sel:DWORD
	s_waitcnt lgkmcnt(2)
	v_lshrrev_b32_e32 v15, 16, v2
	v_fma_f16 v22, v4, v1, v22
	v_mul_f16_sdwa v1, v4, v1 dst_sel:DWORD dst_unused:UNUSED_PAD src0_sel:WORD_1 src1_sel:DWORD
	v_fma_f16 v1, v4, v13, -v1
	v_mul_f16_sdwa v4, v5, v15 dst_sel:DWORD dst_unused:UNUSED_PAD src0_sel:WORD_1 src1_sel:DWORD
	v_lshrrev_b32_e32 v16, 16, v3
	v_fma_f16 v4, v5, v2, v4
	v_mul_f16_sdwa v2, v5, v2 dst_sel:DWORD dst_unused:UNUSED_PAD src0_sel:WORD_1 src1_sel:DWORD
	v_fma_f16 v2, v5, v15, -v2
	v_mul_f16_sdwa v5, v6, v16 dst_sel:DWORD dst_unused:UNUSED_PAD src0_sel:WORD_1 src1_sel:DWORD
	s_waitcnt lgkmcnt(1)
	v_lshrrev_b32_e32 v17, 16, v11
	v_fma_f16 v5, v6, v3, v5
	v_mul_f16_sdwa v3, v6, v3 dst_sel:DWORD dst_unused:UNUSED_PAD src0_sel:WORD_1 src1_sel:DWORD
	v_fma_f16 v3, v6, v16, -v3
	v_mul_f16_sdwa v6, v7, v17 dst_sel:DWORD dst_unused:UNUSED_PAD src0_sel:WORD_1 src1_sel:DWORD
	v_lshrrev_b32_e32 v18, 16, v12
	s_waitcnt lgkmcnt(0)
	v_lshrrev_b32_e32 v21, 16, v14
	v_fma_f16 v6, v7, v11, v6
	v_mul_f16_sdwa v11, v7, v11 dst_sel:DWORD dst_unused:UNUSED_PAD src0_sel:WORD_1 src1_sel:DWORD
	v_fma_f16 v7, v7, v17, -v11
	v_mul_f16_sdwa v11, v19, v18 dst_sel:DWORD dst_unused:UNUSED_PAD src0_sel:WORD_1 src1_sel:DWORD
	v_mul_f16_sdwa v13, v20, v21 dst_sel:DWORD dst_unused:UNUSED_PAD src0_sel:WORD_1 src1_sel:DWORD
	v_fma_f16 v11, v19, v12, v11
	v_mul_f16_sdwa v12, v19, v12 dst_sel:DWORD dst_unused:UNUSED_PAD src0_sel:WORD_1 src1_sel:DWORD
	v_fma_f16 v13, v20, v14, v13
	v_mul_f16_sdwa v14, v20, v14 dst_sel:DWORD dst_unused:UNUSED_PAD src0_sel:WORD_1 src1_sel:DWORD
	v_fma_f16 v12, v19, v18, -v12
	v_fma_f16 v14, v20, v21, -v14
	v_add_f16_e32 v15, v22, v13
	v_add_f16_e32 v16, v1, v14
	v_sub_f16_e32 v1, v1, v14
	v_add_f16_e32 v14, v4, v11
	v_add_f16_e32 v17, v2, v12
	v_sub_f16_e32 v4, v4, v11
	v_sub_f16_e32 v2, v2, v12
	v_add_f16_e32 v11, v5, v6
	v_add_f16_e32 v12, v3, v7
	v_sub_f16_e32 v5, v6, v5
	;; [unrolled: 4-line block ×3, first 2 shown]
	v_sub_f16_e32 v18, v14, v15
	v_sub_f16_e32 v19, v17, v16
	;; [unrolled: 1-line block ×6, first 2 shown]
	v_add_f16_e32 v20, v5, v4
	v_add_f16_e32 v21, v3, v2
	v_sub_f16_e32 v22, v5, v4
	v_sub_f16_e32 v23, v3, v2
	v_add_f16_e32 v6, v11, v6
	v_add_f16_e32 v7, v12, v7
	v_sub_f16_e32 v5, v13, v5
	v_sub_f16_e32 v3, v1, v3
	;; [unrolled: 1-line block ×4, first 2 shown]
	v_add_f16_e32 v11, v20, v13
	v_add_f16_e32 v1, v21, v1
	;; [unrolled: 1-line block ×3, first 2 shown]
	v_add_f16_sdwa v0, v0, v7 dst_sel:DWORD dst_unused:UNUSED_PAD src0_sel:WORD_1 src1_sel:DWORD
	v_mul_f16_e32 v13, 0x3a52, v15
	v_mul_f16_e32 v15, 0x3a52, v16
	;; [unrolled: 1-line block ×8, first 2 shown]
	v_fma_f16 v6, v6, s2, v12
	v_fma_f16 v7, v7, s2, v0
	;; [unrolled: 1-line block ×4, first 2 shown]
	v_fma_f16 v16, v18, s3, -v16
	v_fma_f16 v20, v19, s3, -v20
	;; [unrolled: 1-line block ×4, first 2 shown]
	v_fma_f16 v18, v5, s5, v21
	v_fma_f16 v19, v3, s5, v22
	v_fma_f16 v4, v4, s1, -v21
	v_fma_f16 v2, v2, s1, -v22
	;; [unrolled: 1-line block ×4, first 2 shown]
	v_add_f16_e32 v14, v14, v6
	v_add_f16_e32 v17, v17, v7
	;; [unrolled: 1-line block ×6, first 2 shown]
	v_fma_f16 v13, v11, s13, v18
	v_fma_f16 v15, v1, s13, v19
	;; [unrolled: 1-line block ×6, first 2 shown]
	v_add_f16_e32 v3, v15, v14
	v_sub_f16_e32 v11, v17, v13
	v_add_f16_e32 v18, v1, v6
	v_sub_f16_e32 v19, v7, v5
	v_sub_f16_e32 v21, v16, v2
	v_add_f16_e32 v22, v4, v20
	v_pack_b32_f16 v0, v12, v0
	v_pack_b32_f16 v3, v3, v11
	v_add_f16_e32 v2, v2, v16
	v_sub_f16_e32 v4, v20, v4
	v_sub_f16_e32 v1, v6, v1
	v_add_f16_e32 v5, v5, v7
	ds_write2_b32 v27, v0, v3 offset1:42
	v_pack_b32_f16 v0, v18, v19
	v_pack_b32_f16 v3, v21, v22
	v_sub_f16_e32 v6, v14, v15
	v_add_f16_e32 v7, v13, v17
	ds_write2_b32 v27, v0, v3 offset0:84 offset1:126
	v_pack_b32_f16 v0, v2, v4
	v_pack_b32_f16 v1, v1, v5
	ds_write2_b32 v27, v0, v1 offset0:168 offset1:210
	v_pack_b32_f16 v0, v6, v7
	ds_write_b32 v27, v0 offset:1008
	s_waitcnt lgkmcnt(0)
	s_barrier
	ds_read2_b32 v[0:1], v27 offset1:49
	s_mov_b32 s12, 0x899406f7
	s_mov_b32 s13, 0x3f6bdd2b
	v_mad_u64_u32 v[3:4], s[0:1], s10, v10, 0
	s_waitcnt lgkmcnt(0)
	v_lshrrev_b32_e32 v7, 16, v0
	v_mul_f16_sdwa v2, v34, v7 dst_sel:DWORD dst_unused:UNUSED_PAD src0_sel:WORD_1 src1_sel:DWORD
	v_fma_f16 v2, v34, v0, v2
	v_cvt_f32_f16_e32 v2, v2
	s_movk_i32 s10, 0x1ff
	v_mul_f16_sdwa v0, v34, v0 dst_sel:DWORD dst_unused:UNUSED_PAD src0_sel:WORD_1 src1_sel:DWORD
	v_fma_f16 v0, v34, v7, -v0
	v_cvt_f64_f32_e32 v[5:6], v2
	v_mov_b32_e32 v2, v4
	v_mad_u64_u32 v[10:11], s[0:1], s11, v10, v[2:3]
	v_mul_f64 v[5:6], v[5:6], s[12:13]
	s_movk_i32 s11, 0xffe
	v_mov_b32_e32 v4, v10
	v_cvt_f32_f16_e32 v0, v0
	s_mov_b32 s15, 0x8000
	v_lshlrev_b64 v[3:4], 2, v[3:4]
	v_and_or_b32 v2, v6, s10, v5
	v_cmp_ne_u32_e64 s[0:1], 0, v2
	v_cndmask_b32_e64 v2, 0, 1, s[0:1]
	v_lshrrev_b32_e32 v5, 8, v6
	v_bfe_u32 v10, v6, 20, 11
	v_and_or_b32 v5, v5, s11, v2
	v_sub_u32_e32 v11, 0x3f1, v10
	v_or_b32_e32 v2, 0x1000, v5
	v_med3_i32 v11, v11, 0, 13
	v_lshrrev_b32_e32 v12, v11, v2
	v_lshlrev_b32_e32 v11, v11, v12
	v_cmp_ne_u32_e64 s[0:1], v11, v2
	v_cndmask_b32_e64 v2, 0, 1, s[0:1]
	v_or_b32_e32 v2, v12, v2
	v_add_u32_e32 v12, 0xfffffc10, v10
	v_lshl_or_b32 v10, v12, 12, v5
	v_cmp_gt_i32_e64 s[0:1], 1, v12
	v_cndmask_b32_e64 v2, v10, v2, s[0:1]
	v_and_b32_e32 v10, 7, v2
	v_cmp_lt_i32_e64 s[0:1], 5, v10
	v_cmp_eq_u32_e64 s[2:3], 3, v10
	v_cvt_f64_f32_e32 v[10:11], v0
	v_lshrrev_b32_e32 v2, 2, v2
	s_or_b64 s[0:1], s[2:3], s[0:1]
	v_addc_co_u32_e64 v7, s[0:1], 0, v2, s[0:1]
	v_mul_f64 v[10:11], v[10:11], s[12:13]
	v_mov_b32_e32 v2, 0x7c00
	v_cmp_gt_i32_e64 s[0:1], 31, v12
	v_cndmask_b32_e64 v0, v2, v7, s[0:1]
	v_cmp_ne_u32_e64 s[0:1], 0, v5
	v_cndmask_b32_e64 v5, 0, 1, s[0:1]
	v_lshl_or_b32 v5, v5, 9, v2
	v_cmp_eq_u32_e64 s[0:1], s14, v12
	v_cndmask_b32_e64 v0, v0, v5, s[0:1]
	v_lshrrev_b32_e32 v5, 16, v6
	v_and_or_b32 v12, v5, s15, v0
	v_and_or_b32 v0, v11, s10, v10
	v_cmp_ne_u32_e64 s[0:1], 0, v0
	v_cndmask_b32_e64 v0, 0, 1, s[0:1]
	v_lshrrev_b32_e32 v5, 8, v11
	v_bfe_u32 v6, v11, 20, 11
	v_and_or_b32 v0, v5, s11, v0
	v_sub_u32_e32 v7, 0x3f1, v6
	v_or_b32_e32 v5, 0x1000, v0
	v_med3_i32 v7, v7, 0, 13
	v_lshrrev_b32_e32 v10, v7, v5
	v_lshlrev_b32_e32 v7, v7, v10
	v_cmp_ne_u32_e64 s[0:1], v7, v5
	v_cndmask_b32_e64 v5, 0, 1, s[0:1]
	v_add_u32_e32 v7, 0xfffffc10, v6
	v_or_b32_e32 v5, v10, v5
	v_lshl_or_b32 v6, v7, 12, v0
	v_cmp_gt_i32_e64 s[0:1], 1, v7
	v_cndmask_b32_e64 v5, v6, v5, s[0:1]
	v_and_b32_e32 v6, 7, v5
	v_cmp_lt_i32_e64 s[0:1], 5, v6
	v_cmp_eq_u32_e64 s[2:3], 3, v6
	v_lshrrev_b32_e32 v5, 2, v5
	s_or_b64 s[0:1], s[2:3], s[0:1]
	v_addc_co_u32_e64 v5, s[0:1], 0, v5, s[0:1]
	v_cmp_gt_i32_e64 s[0:1], 31, v7
	v_cndmask_b32_e64 v10, v2, v5, s[0:1]
	v_cmp_ne_u32_e64 s[0:1], 0, v0
	v_cndmask_b32_e64 v0, 0, 1, s[0:1]
	v_mad_u64_u32 v[5:6], s[0:1], s8, v32, 0
	v_lshl_or_b32 v0, v0, 9, v2
	v_cmp_eq_u32_e64 s[0:1], s14, v7
	v_cndmask_b32_e64 v10, v10, v0, s[0:1]
	v_mov_b32_e32 v0, v6
	v_mad_u64_u32 v[6:7], s[0:1], s9, v32, v[0:1]
	v_lshrrev_b32_e32 v0, 16, v1
	v_mul_f16_sdwa v7, v33, v0 dst_sel:DWORD dst_unused:UNUSED_PAD src0_sel:WORD_1 src1_sel:DWORD
	v_fma_f16 v7, v33, v1, v7
	v_cvt_f32_f16_e32 v7, v7
	v_lshrrev_b32_e32 v11, 16, v11
	v_and_or_b32 v13, v11, s15, v10
	v_and_b32_e32 v12, 0xffff, v12
	v_cvt_f64_f32_e32 v[10:11], v7
	v_lshl_or_b32 v7, v13, 16, v12
	v_mov_b32_e32 v12, s7
	v_add_co_u32_e64 v13, s[0:1], s6, v3
	v_mul_f64 v[10:11], v[10:11], s[12:13]
	v_addc_co_u32_e64 v12, s[0:1], v12, v4, s[0:1]
	v_lshlrev_b64 v[3:4], 2, v[5:6]
	v_mul_f16_sdwa v1, v33, v1 dst_sel:DWORD dst_unused:UNUSED_PAD src0_sel:WORD_1 src1_sel:DWORD
	v_add_co_u32_e64 v3, s[0:1], v13, v3
	v_addc_co_u32_e64 v4, s[0:1], v12, v4, s[0:1]
	v_and_or_b32 v5, v11, s10, v10
	v_cmp_ne_u32_e64 s[0:1], 0, v5
	v_fma_f16 v0, v33, v0, -v1
	global_store_dword v[3:4], v7, off
	v_cndmask_b32_e64 v5, 0, 1, s[0:1]
	v_lshrrev_b32_e32 v6, 8, v11
	v_bfe_u32 v7, v11, 20, 11
	v_cvt_f32_f16_e32 v0, v0
	v_and_or_b32 v5, v6, s11, v5
	v_sub_u32_e32 v10, 0x3f1, v7
	v_or_b32_e32 v6, 0x1000, v5
	v_med3_i32 v10, v10, 0, 13
	v_lshrrev_b32_e32 v12, v10, v6
	v_lshlrev_b32_e32 v10, v10, v12
	v_cvt_f64_f32_e32 v[0:1], v0
	v_cmp_ne_u32_e64 s[0:1], v10, v6
	v_cndmask_b32_e64 v6, 0, 1, s[0:1]
	v_add_u32_e32 v7, 0xfffffc10, v7
	v_or_b32_e32 v6, v12, v6
	v_lshl_or_b32 v10, v7, 12, v5
	v_cmp_gt_i32_e64 s[0:1], 1, v7
	v_cndmask_b32_e64 v6, v10, v6, s[0:1]
	v_mul_f64 v[0:1], v[0:1], s[12:13]
	v_and_b32_e32 v10, 7, v6
	v_cmp_lt_i32_e64 s[0:1], 5, v10
	v_cmp_eq_u32_e64 s[2:3], 3, v10
	v_lshrrev_b32_e32 v6, 2, v6
	s_or_b64 s[0:1], s[2:3], s[0:1]
	v_addc_co_u32_e64 v6, s[0:1], 0, v6, s[0:1]
	v_cmp_gt_i32_e64 s[0:1], 31, v7
	v_cndmask_b32_e64 v6, v2, v6, s[0:1]
	v_cmp_ne_u32_e64 s[0:1], 0, v5
	v_cndmask_b32_e64 v5, 0, 1, s[0:1]
	v_lshl_or_b32 v5, v5, 9, v2
	v_cmp_eq_u32_e64 s[0:1], s14, v7
	v_and_or_b32 v0, v1, s10, v0
	v_cndmask_b32_e64 v5, v6, v5, s[0:1]
	v_lshrrev_b32_e32 v6, 16, v11
	v_cmp_ne_u32_e64 s[0:1], 0, v0
	v_and_or_b32 v7, v6, s15, v5
	v_cndmask_b32_e64 v0, 0, 1, s[0:1]
	v_lshrrev_b32_e32 v5, 8, v1
	v_bfe_u32 v6, v1, 20, 11
	v_and_or_b32 v0, v5, s11, v0
	v_sub_u32_e32 v10, 0x3f1, v6
	v_or_b32_e32 v5, 0x1000, v0
	v_med3_i32 v10, v10, 0, 13
	v_lshrrev_b32_e32 v11, v10, v5
	v_lshlrev_b32_e32 v10, v10, v11
	v_cmp_ne_u32_e64 s[0:1], v10, v5
	v_cndmask_b32_e64 v5, 0, 1, s[0:1]
	v_add_u32_e32 v10, 0xfffffc10, v6
	v_or_b32_e32 v5, v11, v5
	v_lshl_or_b32 v6, v10, 12, v0
	v_cmp_gt_i32_e64 s[0:1], 1, v10
	v_cndmask_b32_e64 v5, v6, v5, s[0:1]
	v_and_b32_e32 v6, 7, v5
	v_cmp_lt_i32_e64 s[0:1], 5, v6
	v_cmp_eq_u32_e64 s[2:3], 3, v6
	v_lshrrev_b32_e32 v5, 2, v5
	s_or_b64 s[0:1], s[2:3], s[0:1]
	v_addc_co_u32_e64 v5, s[0:1], 0, v5, s[0:1]
	v_cmp_gt_i32_e64 s[0:1], 31, v10
	v_cndmask_b32_e64 v11, v2, v5, s[0:1]
	ds_read2_b32 v[5:6], v27 offset0:98 offset1:147
	v_cmp_ne_u32_e64 s[0:1], 0, v0
	v_cndmask_b32_e64 v0, 0, 1, s[0:1]
	v_lshl_or_b32 v0, v0, 9, v2
	v_cmp_eq_u32_e64 s[0:1], s14, v10
	v_cndmask_b32_e64 v0, v11, v0, s[0:1]
	v_lshrrev_b32_e32 v1, 16, v1
	s_waitcnt lgkmcnt(0)
	v_lshrrev_b32_e32 v11, 16, v5
	v_and_or_b32 v10, v1, s15, v0
	v_mul_f16_sdwa v0, v31, v11 dst_sel:DWORD dst_unused:UNUSED_PAD src0_sel:WORD_1 src1_sel:DWORD
	v_fma_f16 v0, v31, v5, v0
	v_cvt_f32_f16_e32 v0, v0
	s_mul_i32 s0, s9, 49
	s_mul_hi_u32 s1, s8, 49
	s_add_i32 s1, s1, s0
	v_cvt_f64_f32_e32 v[0:1], v0
	s_mul_i32 s0, s8, 49
	s_lshl_b64 s[6:7], s[0:1], 2
	v_mov_b32_e32 v12, s7
	v_mul_f64 v[0:1], v[0:1], s[12:13]
	v_add_co_u32_e64 v3, s[0:1], s6, v3
	v_and_b32_e32 v7, 0xffff, v7
	v_addc_co_u32_e64 v4, s[0:1], v4, v12, s[0:1]
	v_lshl_or_b32 v7, v10, 16, v7
	global_store_dword v[3:4], v7, off
	v_and_or_b32 v0, v1, s10, v0
	v_cmp_ne_u32_e64 s[0:1], 0, v0
	v_cndmask_b32_e64 v0, 0, 1, s[0:1]
	v_lshrrev_b32_e32 v7, 8, v1
	v_bfe_u32 v10, v1, 20, 11
	v_and_or_b32 v0, v7, s11, v0
	v_sub_u32_e32 v13, 0x3f1, v10
	v_or_b32_e32 v7, 0x1000, v0
	v_med3_i32 v13, v13, 0, 13
	v_lshrrev_b32_e32 v14, v13, v7
	v_lshlrev_b32_e32 v13, v13, v14
	v_mul_f16_sdwa v5, v31, v5 dst_sel:DWORD dst_unused:UNUSED_PAD src0_sel:WORD_1 src1_sel:DWORD
	v_cmp_ne_u32_e64 s[0:1], v13, v7
	v_fma_f16 v5, v31, v11, -v5
	v_cndmask_b32_e64 v7, 0, 1, s[0:1]
	v_add_u32_e32 v13, 0xfffffc10, v10
	v_cvt_f32_f16_e32 v5, v5
	v_or_b32_e32 v7, v14, v7
	v_lshl_or_b32 v10, v13, 12, v0
	v_cmp_gt_i32_e64 s[0:1], 1, v13
	v_cndmask_b32_e64 v7, v10, v7, s[0:1]
	v_and_b32_e32 v10, 7, v7
	v_cmp_lt_i32_e64 s[0:1], 5, v10
	v_cmp_eq_u32_e64 s[2:3], 3, v10
	v_cvt_f64_f32_e32 v[10:11], v5
	v_lshrrev_b32_e32 v7, 2, v7
	s_or_b64 s[0:1], s[2:3], s[0:1]
	v_addc_co_u32_e64 v5, s[0:1], 0, v7, s[0:1]
	v_mul_f64 v[10:11], v[10:11], s[12:13]
	v_cmp_gt_i32_e64 s[0:1], 31, v13
	v_cndmask_b32_e64 v5, v2, v5, s[0:1]
	v_cmp_ne_u32_e64 s[0:1], 0, v0
	v_cndmask_b32_e64 v0, 0, 1, s[0:1]
	v_lshl_or_b32 v0, v0, 9, v2
	v_cmp_eq_u32_e64 s[0:1], s14, v13
	v_cndmask_b32_e64 v0, v5, v0, s[0:1]
	v_lshrrev_b32_e32 v1, 16, v1
	v_and_or_b32 v5, v1, s15, v0
	v_and_or_b32 v0, v11, s10, v10
	v_cmp_ne_u32_e64 s[0:1], 0, v0
	v_cndmask_b32_e64 v0, 0, 1, s[0:1]
	v_lshrrev_b32_e32 v1, 8, v11
	v_bfe_u32 v7, v11, 20, 11
	v_and_or_b32 v0, v1, s11, v0
	v_sub_u32_e32 v10, 0x3f1, v7
	v_or_b32_e32 v1, 0x1000, v0
	v_med3_i32 v10, v10, 0, 13
	v_lshrrev_b32_e32 v13, v10, v1
	v_lshlrev_b32_e32 v10, v10, v13
	v_cmp_ne_u32_e64 s[0:1], v10, v1
	v_cndmask_b32_e64 v1, 0, 1, s[0:1]
	v_add_u32_e32 v7, 0xfffffc10, v7
	v_or_b32_e32 v1, v13, v1
	v_lshl_or_b32 v10, v7, 12, v0
	v_cmp_gt_i32_e64 s[0:1], 1, v7
	v_cndmask_b32_e64 v1, v10, v1, s[0:1]
	v_and_b32_e32 v10, 7, v1
	v_cmp_lt_i32_e64 s[0:1], 5, v10
	v_cmp_eq_u32_e64 s[2:3], 3, v10
	v_lshrrev_b32_e32 v1, 2, v1
	s_or_b64 s[0:1], s[2:3], s[0:1]
	v_addc_co_u32_e64 v1, s[0:1], 0, v1, s[0:1]
	v_cmp_gt_i32_e64 s[0:1], 31, v7
	v_lshrrev_b32_e32 v13, 16, v6
	v_cndmask_b32_e64 v10, v2, v1, s[0:1]
	v_mul_f16_sdwa v1, v30, v13 dst_sel:DWORD dst_unused:UNUSED_PAD src0_sel:WORD_1 src1_sel:DWORD
	v_fma_f16 v1, v30, v6, v1
	v_cvt_f32_f16_e32 v1, v1
	v_cmp_ne_u32_e64 s[0:1], 0, v0
	v_cndmask_b32_e64 v0, 0, 1, s[0:1]
	v_lshl_or_b32 v14, v0, 9, v2
	v_cvt_f64_f32_e32 v[0:1], v1
	v_cmp_eq_u32_e64 s[0:1], s14, v7
	v_cndmask_b32_e64 v7, v10, v14, s[0:1]
	v_lshrrev_b32_e32 v10, 16, v11
	v_mul_f64 v[0:1], v[0:1], s[12:13]
	v_add_co_u32_e64 v3, s[0:1], s6, v3
	v_and_or_b32 v7, v10, s15, v7
	v_and_b32_e32 v5, 0xffff, v5
	v_addc_co_u32_e64 v4, s[0:1], v4, v12, s[0:1]
	v_lshl_or_b32 v5, v7, 16, v5
	v_and_or_b32 v0, v1, s10, v0
	v_cmp_ne_u32_e64 s[0:1], 0, v0
	global_store_dword v[3:4], v5, off
	v_cndmask_b32_e64 v0, 0, 1, s[0:1]
	v_lshrrev_b32_e32 v5, 8, v1
	v_bfe_u32 v7, v1, 20, 11
	v_and_or_b32 v0, v5, s11, v0
	v_sub_u32_e32 v10, 0x3f1, v7
	v_or_b32_e32 v5, 0x1000, v0
	v_med3_i32 v10, v10, 0, 13
	v_lshrrev_b32_e32 v11, v10, v5
	v_lshlrev_b32_e32 v10, v10, v11
	v_mul_f16_sdwa v6, v30, v6 dst_sel:DWORD dst_unused:UNUSED_PAD src0_sel:WORD_1 src1_sel:DWORD
	v_cmp_ne_u32_e64 s[0:1], v10, v5
	v_fma_f16 v6, v30, v13, -v6
	v_cndmask_b32_e64 v5, 0, 1, s[0:1]
	v_add_u32_e32 v7, 0xfffffc10, v7
	v_cvt_f32_f16_e32 v6, v6
	v_or_b32_e32 v5, v11, v5
	v_lshl_or_b32 v10, v7, 12, v0
	v_cmp_gt_i32_e64 s[0:1], 1, v7
	v_cndmask_b32_e64 v5, v10, v5, s[0:1]
	v_and_b32_e32 v10, 7, v5
	v_cmp_lt_i32_e64 s[0:1], 5, v10
	v_cmp_eq_u32_e64 s[2:3], 3, v10
	v_lshrrev_b32_e32 v10, 2, v5
	v_cvt_f64_f32_e32 v[5:6], v6
	s_or_b64 s[0:1], s[2:3], s[0:1]
	v_addc_co_u32_e64 v10, s[0:1], 0, v10, s[0:1]
	v_mul_f64 v[5:6], v[5:6], s[12:13]
	v_cmp_gt_i32_e64 s[0:1], 31, v7
	v_cndmask_b32_e64 v10, v2, v10, s[0:1]
	v_cmp_ne_u32_e64 s[0:1], 0, v0
	v_cndmask_b32_e64 v0, 0, 1, s[0:1]
	v_lshl_or_b32 v0, v0, 9, v2
	v_cmp_eq_u32_e64 s[0:1], s14, v7
	v_cndmask_b32_e64 v0, v10, v0, s[0:1]
	v_lshrrev_b32_e32 v1, 16, v1
	v_and_or_b32 v7, v1, s15, v0
	v_and_or_b32 v0, v6, s10, v5
	v_cmp_ne_u32_e64 s[0:1], 0, v0
	v_cndmask_b32_e64 v0, 0, 1, s[0:1]
	v_lshrrev_b32_e32 v1, 8, v6
	v_and_or_b32 v5, v1, s11, v0
	v_bfe_u32 v1, v6, 20, 11
	v_sub_u32_e32 v10, 0x3f1, v1
	v_or_b32_e32 v0, 0x1000, v5
	v_med3_i32 v10, v10, 0, 13
	v_lshrrev_b32_e32 v11, v10, v0
	v_lshlrev_b32_e32 v10, v10, v11
	v_cmp_ne_u32_e64 s[0:1], v10, v0
	v_cndmask_b32_e64 v0, 0, 1, s[0:1]
	v_add_u32_e32 v13, 0xfffffc10, v1
	v_or_b32_e32 v0, v11, v0
	v_lshl_or_b32 v1, v13, 12, v5
	v_cmp_gt_i32_e64 s[0:1], 1, v13
	v_cndmask_b32_e64 v0, v1, v0, s[0:1]
	v_and_b32_e32 v1, 7, v0
	v_cmp_lt_i32_e64 s[0:1], 5, v1
	v_cmp_eq_u32_e64 s[2:3], 3, v1
	v_lshrrev_b32_e32 v10, 2, v0
	ds_read2_b32 v[0:1], v27 offset0:196 offset1:245
	s_or_b64 s[0:1], s[2:3], s[0:1]
	v_addc_co_u32_e64 v10, s[0:1], 0, v10, s[0:1]
	v_cmp_gt_i32_e64 s[0:1], 31, v13
	s_waitcnt lgkmcnt(0)
	v_lshrrev_b32_e32 v15, 16, v0
	v_cndmask_b32_e64 v14, v2, v10, s[0:1]
	v_mul_f16_sdwa v10, v29, v15 dst_sel:DWORD dst_unused:UNUSED_PAD src0_sel:WORD_1 src1_sel:DWORD
	v_fma_f16 v10, v29, v0, v10
	v_cvt_f32_f16_e32 v10, v10
	v_cmp_ne_u32_e64 s[0:1], 0, v5
	v_cndmask_b32_e64 v5, 0, 1, s[0:1]
	v_lshl_or_b32 v5, v5, 9, v2
	v_cvt_f64_f32_e32 v[10:11], v10
	v_cmp_eq_u32_e64 s[0:1], s14, v13
	v_cndmask_b32_e64 v5, v14, v5, s[0:1]
	v_lshrrev_b32_e32 v6, 16, v6
	v_and_or_b32 v13, v6, s15, v5
	v_mul_f64 v[5:6], v[10:11], s[12:13]
	v_add_co_u32_e64 v3, s[0:1], s6, v3
	v_and_b32_e32 v7, 0xffff, v7
	v_addc_co_u32_e64 v4, s[0:1], v4, v12, s[0:1]
	v_lshl_or_b32 v7, v13, 16, v7
	global_store_dword v[3:4], v7, off
	v_and_or_b32 v5, v6, s10, v5
	v_cmp_ne_u32_e64 s[0:1], 0, v5
	v_cndmask_b32_e64 v5, 0, 1, s[0:1]
	v_lshrrev_b32_e32 v7, 8, v6
	v_bfe_u32 v10, v6, 20, 11
	v_and_or_b32 v5, v7, s11, v5
	v_sub_u32_e32 v11, 0x3f1, v10
	v_or_b32_e32 v7, 0x1000, v5
	v_med3_i32 v11, v11, 0, 13
	v_lshrrev_b32_e32 v13, v11, v7
	v_lshlrev_b32_e32 v11, v11, v13
	v_cmp_ne_u32_e64 s[0:1], v11, v7
	v_mul_f16_sdwa v0, v29, v0 dst_sel:DWORD dst_unused:UNUSED_PAD src0_sel:WORD_1 src1_sel:DWORD
	v_cndmask_b32_e64 v7, 0, 1, s[0:1]
	v_fma_f16 v0, v29, v15, -v0
	v_or_b32_e32 v7, v13, v7
	v_add_u32_e32 v13, 0xfffffc10, v10
	v_cvt_f32_f16_e32 v0, v0
	v_lshl_or_b32 v10, v13, 12, v5
	v_cmp_gt_i32_e64 s[0:1], 1, v13
	v_cndmask_b32_e64 v7, v10, v7, s[0:1]
	v_and_b32_e32 v10, 7, v7
	v_cmp_lt_i32_e64 s[0:1], 5, v10
	v_cmp_eq_u32_e64 s[2:3], 3, v10
	v_cvt_f64_f32_e32 v[10:11], v0
	v_lshrrev_b32_e32 v7, 2, v7
	s_or_b64 s[0:1], s[2:3], s[0:1]
	v_addc_co_u32_e64 v0, s[0:1], 0, v7, s[0:1]
	v_mul_f64 v[10:11], v[10:11], s[12:13]
	v_cmp_gt_i32_e64 s[0:1], 31, v13
	v_cndmask_b32_e64 v0, v2, v0, s[0:1]
	v_cmp_ne_u32_e64 s[0:1], 0, v5
	v_cndmask_b32_e64 v5, 0, 1, s[0:1]
	v_lshl_or_b32 v5, v5, 9, v2
	v_cmp_eq_u32_e64 s[0:1], s14, v13
	v_cndmask_b32_e64 v0, v0, v5, s[0:1]
	v_lshrrev_b32_e32 v5, 16, v6
	v_and_or_b32 v0, v5, s15, v0
	v_and_or_b32 v5, v11, s10, v10
	v_cmp_ne_u32_e64 s[0:1], 0, v5
	v_cndmask_b32_e64 v5, 0, 1, s[0:1]
	v_lshrrev_b32_e32 v6, 8, v11
	v_bfe_u32 v7, v11, 20, 11
	v_and_or_b32 v5, v6, s11, v5
	v_sub_u32_e32 v10, 0x3f1, v7
	v_or_b32_e32 v6, 0x1000, v5
	v_med3_i32 v10, v10, 0, 13
	v_lshrrev_b32_e32 v13, v10, v6
	v_lshlrev_b32_e32 v10, v10, v13
	v_cmp_ne_u32_e64 s[0:1], v10, v6
	v_cndmask_b32_e64 v6, 0, 1, s[0:1]
	v_add_u32_e32 v7, 0xfffffc10, v7
	v_or_b32_e32 v6, v13, v6
	v_lshl_or_b32 v10, v7, 12, v5
	v_cmp_gt_i32_e64 s[0:1], 1, v7
	v_cndmask_b32_e64 v6, v10, v6, s[0:1]
	v_and_b32_e32 v10, 7, v6
	v_cmp_lt_i32_e64 s[0:1], 5, v10
	v_cmp_eq_u32_e64 s[2:3], 3, v10
	v_lshrrev_b32_e32 v6, 2, v6
	s_or_b64 s[0:1], s[2:3], s[0:1]
	v_addc_co_u32_e64 v6, s[0:1], 0, v6, s[0:1]
	v_cmp_gt_i32_e64 s[0:1], 31, v7
	v_lshrrev_b32_e32 v13, 16, v1
	v_cndmask_b32_e64 v10, v2, v6, s[0:1]
	v_mul_f16_sdwa v6, v28, v13 dst_sel:DWORD dst_unused:UNUSED_PAD src0_sel:WORD_1 src1_sel:DWORD
	v_fma_f16 v6, v28, v1, v6
	v_cvt_f32_f16_e32 v6, v6
	v_cmp_ne_u32_e64 s[0:1], 0, v5
	v_cndmask_b32_e64 v5, 0, 1, s[0:1]
	v_lshl_or_b32 v14, v5, 9, v2
	v_cvt_f64_f32_e32 v[5:6], v6
	v_cmp_eq_u32_e64 s[0:1], s14, v7
	v_cndmask_b32_e64 v7, v10, v14, s[0:1]
	v_lshrrev_b32_e32 v10, 16, v11
	v_mul_f64 v[5:6], v[5:6], s[12:13]
	v_and_or_b32 v7, v10, s15, v7
	v_and_b32_e32 v0, 0xffff, v0
	v_add_co_u32_e64 v3, s[0:1], s6, v3
	v_lshl_or_b32 v0, v7, 16, v0
	v_addc_co_u32_e64 v4, s[0:1], v4, v12, s[0:1]
	global_store_dword v[3:4], v0, off
	v_and_or_b32 v0, v6, s10, v5
	v_cmp_ne_u32_e64 s[0:1], 0, v0
	v_cndmask_b32_e64 v0, 0, 1, s[0:1]
	v_lshrrev_b32_e32 v5, 8, v6
	v_bfe_u32 v7, v6, 20, 11
	v_and_or_b32 v5, v5, s11, v0
	v_sub_u32_e32 v10, 0x3f1, v7
	v_or_b32_e32 v0, 0x1000, v5
	v_med3_i32 v10, v10, 0, 13
	v_lshrrev_b32_e32 v11, v10, v0
	v_lshlrev_b32_e32 v10, v10, v11
	v_mul_f16_sdwa v1, v28, v1 dst_sel:DWORD dst_unused:UNUSED_PAD src0_sel:WORD_1 src1_sel:DWORD
	v_cmp_ne_u32_e64 s[0:1], v10, v0
	v_fma_f16 v1, v28, v13, -v1
	v_cndmask_b32_e64 v0, 0, 1, s[0:1]
	v_add_u32_e32 v7, 0xfffffc10, v7
	v_cvt_f32_f16_e32 v1, v1
	v_or_b32_e32 v0, v11, v0
	v_lshl_or_b32 v10, v7, 12, v5
	v_cmp_gt_i32_e64 s[0:1], 1, v7
	v_cndmask_b32_e64 v0, v10, v0, s[0:1]
	v_and_b32_e32 v10, 7, v0
	v_cmp_lt_i32_e64 s[0:1], 5, v10
	v_cmp_eq_u32_e64 s[2:3], 3, v10
	v_lshrrev_b32_e32 v10, 2, v0
	v_cvt_f64_f32_e32 v[0:1], v1
	s_or_b64 s[0:1], s[2:3], s[0:1]
	v_addc_co_u32_e64 v10, s[0:1], 0, v10, s[0:1]
	v_mul_f64 v[0:1], v[0:1], s[12:13]
	v_cmp_gt_i32_e64 s[0:1], 31, v7
	v_cndmask_b32_e64 v10, v2, v10, s[0:1]
	v_cmp_ne_u32_e64 s[0:1], 0, v5
	v_cndmask_b32_e64 v5, 0, 1, s[0:1]
	v_lshl_or_b32 v5, v5, 9, v2
	v_cmp_eq_u32_e64 s[0:1], s14, v7
	v_cndmask_b32_e64 v5, v10, v5, s[0:1]
	v_and_or_b32 v0, v1, s10, v0
	v_lshrrev_b32_e32 v6, 16, v6
	v_cmp_ne_u32_e64 s[0:1], 0, v0
	v_and_or_b32 v5, v6, s15, v5
	v_cndmask_b32_e64 v0, 0, 1, s[0:1]
	v_lshrrev_b32_e32 v6, 8, v1
	v_bfe_u32 v7, v1, 20, 11
	v_and_or_b32 v0, v6, s11, v0
	v_sub_u32_e32 v10, 0x3f1, v7
	v_or_b32_e32 v6, 0x1000, v0
	v_med3_i32 v10, v10, 0, 13
	v_lshrrev_b32_e32 v11, v10, v6
	v_lshlrev_b32_e32 v10, v10, v11
	v_cmp_ne_u32_e64 s[0:1], v10, v6
	v_cndmask_b32_e64 v6, 0, 1, s[0:1]
	v_add_u32_e32 v7, 0xfffffc10, v7
	v_or_b32_e32 v6, v11, v6
	v_lshl_or_b32 v10, v7, 12, v0
	v_cmp_gt_i32_e64 s[0:1], 1, v7
	v_cndmask_b32_e64 v6, v10, v6, s[0:1]
	v_and_b32_e32 v10, 7, v6
	v_cmp_lt_i32_e64 s[0:1], 5, v10
	v_cmp_eq_u32_e64 s[2:3], 3, v10
	v_lshrrev_b32_e32 v6, 2, v6
	s_or_b64 s[0:1], s[2:3], s[0:1]
	v_addc_co_u32_e64 v6, s[0:1], 0, v6, s[0:1]
	v_cmp_gt_i32_e64 s[0:1], 31, v7
	v_cndmask_b32_e64 v6, v2, v6, s[0:1]
	v_cmp_ne_u32_e64 s[0:1], 0, v0
	v_cndmask_b32_e64 v0, 0, 1, s[0:1]
	v_lshl_or_b32 v0, v0, 9, v2
	v_cmp_eq_u32_e64 s[0:1], s14, v7
	v_cndmask_b32_e64 v0, v6, v0, s[0:1]
	v_lshrrev_b32_e32 v1, 16, v1
	v_and_or_b32 v0, v1, s15, v0
	v_and_b32_e32 v1, 0xffff, v5
	v_lshl_or_b32 v5, v0, 16, v1
	v_add_co_u32_e64 v0, s[0:1], s6, v3
	v_addc_co_u32_e64 v1, s[0:1], v4, v12, s[0:1]
	global_store_dword v[0:1], v5, off
	s_and_b64 exec, exec, vcc
	s_cbranch_execz .LBB0_15
; %bb.14:
	global_load_dword v5, v[8:9], off offset:168
	global_load_dword v11, v[8:9], off offset:364
	ds_read2_b32 v[3:4], v27 offset0:42 offset1:91
	global_load_dword v12, v[8:9], off offset:560
	global_load_dword v13, v[8:9], off offset:756
	;; [unrolled: 1-line block ×4, first 2 shown]
	v_mov_b32_e32 v10, 0xfffffcd4
	v_mad_u64_u32 v[0:1], s[2:3], s8, v10, v[0:1]
	s_waitcnt lgkmcnt(0)
	v_lshrrev_b32_e32 v6, 16, v3
	v_lshrrev_b32_e32 v16, 16, v4
	s_mul_i32 s0, s9, 0xfffffcd4
	s_sub_i32 s0, s0, s8
	v_add_u32_e32 v1, s0, v1
	s_waitcnt vmcnt(5)
	v_mul_f16_sdwa v7, v6, v5 dst_sel:DWORD dst_unused:UNUSED_PAD src0_sel:DWORD src1_sel:WORD_1
	v_mul_f16_sdwa v8, v3, v5 dst_sel:DWORD dst_unused:UNUSED_PAD src0_sel:DWORD src1_sel:WORD_1
	v_fma_f16 v3, v3, v5, v7
	v_cvt_f32_f16_e32 v3, v3
	s_waitcnt vmcnt(4)
	v_mul_f16_sdwa v7, v16, v11 dst_sel:DWORD dst_unused:UNUSED_PAD src0_sel:DWORD src1_sel:WORD_1
	v_fma_f16 v5, v5, v6, -v8
	v_cvt_f32_f16_e32 v8, v5
	v_cvt_f64_f32_e32 v[5:6], v3
	v_fma_f16 v3, v4, v11, v7
	v_cvt_f32_f16_e32 v3, v3
	v_cvt_f64_f32_e32 v[7:8], v8
	v_mul_f64 v[5:6], v[5:6], s[12:13]
	v_mul_f16_sdwa v4, v4, v11 dst_sel:DWORD dst_unused:UNUSED_PAD src0_sel:DWORD src1_sel:WORD_1
	v_cvt_f64_f32_e32 v[9:10], v3
	v_mul_f64 v[7:8], v[7:8], s[12:13]
	v_fma_f16 v4, v11, v16, -v4
	v_cvt_f32_f16_e32 v4, v4
	v_mul_f64 v[9:10], v[9:10], s[12:13]
	v_and_or_b32 v3, v6, s10, v5
	v_cmp_ne_u32_e32 vcc, 0, v3
	v_lshrrev_b32_e32 v5, 8, v6
	v_and_or_b32 v7, v8, s10, v7
	v_bfe_u32 v17, v6, 20, 11
	v_cndmask_b32_e64 v3, 0, 1, vcc
	v_and_or_b32 v9, v10, s10, v9
	v_cmp_ne_u32_e32 vcc, 0, v7
	v_lshrrev_b32_e32 v18, 8, v8
	v_bfe_u32 v19, v8, 20, 11
	v_bfe_u32 v21, v10, 20, 11
	v_sub_u32_e32 v22, 0x3f1, v17
	v_cndmask_b32_e64 v7, 0, 1, vcc
	v_cmp_ne_u32_e32 vcc, 0, v9
	v_and_or_b32 v3, v5, s11, v3
	v_lshrrev_b32_e32 v20, 8, v10
	v_sub_u32_e32 v23, 0x3f1, v19
	v_cndmask_b32_e64 v9, 0, 1, vcc
	v_sub_u32_e32 v24, 0x3f1, v21
	v_med3_i32 v5, v22, 0, 13
	v_and_or_b32 v7, v18, s11, v7
	v_or_b32_e32 v22, 0x1000, v3
	v_add_u32_e32 v17, 0xfffffc10, v17
	v_med3_i32 v18, v23, 0, 13
	v_and_or_b32 v9, v20, s11, v9
	v_med3_i32 v20, v24, 0, 13
	v_cmp_ne_u32_e32 vcc, 0, v3
	v_or_b32_e32 v24, 0x1000, v7
	v_lshrrev_b32_e32 v28, v5, v22
	v_add_u32_e32 v19, 0xfffffc10, v19
	v_lshl_or_b32 v23, v17, 12, v3
	v_cndmask_b32_e64 v3, 0, 1, vcc
	v_cmp_ne_u32_e32 vcc, 0, v7
	v_or_b32_e32 v26, 0x1000, v9
	v_lshrrev_b32_e32 v29, v18, v24
	v_lshlrev_b32_e32 v5, v5, v28
	v_lshl_or_b32 v25, v19, 12, v7
	v_cndmask_b32_e64 v7, 0, 1, vcc
	v_lshrrev_b32_e32 v30, v20, v26
	v_lshlrev_b32_e32 v18, v18, v29
	v_cmp_ne_u32_e32 vcc, v5, v22
	v_lshlrev_b32_e32 v20, v20, v30
	v_cndmask_b32_e64 v5, 0, 1, vcc
	v_cmp_ne_u32_e32 vcc, v18, v24
	v_cndmask_b32_e64 v18, 0, 1, vcc
	v_cmp_ne_u32_e32 vcc, v20, v26
	v_cndmask_b32_e64 v20, 0, 1, vcc
	v_or_b32_e32 v5, v28, v5
	v_cmp_gt_i32_e32 vcc, 1, v17
	v_cndmask_b32_e32 v5, v23, v5, vcc
	v_or_b32_e32 v18, v29, v18
	v_cmp_gt_i32_e32 vcc, 1, v19
	v_and_b32_e32 v22, 7, v5
	v_cndmask_b32_e32 v18, v25, v18, vcc
	v_cmp_lt_i32_e32 vcc, 5, v22
	v_cmp_eq_u32_e64 s[0:1], 3, v22
	v_lshrrev_b32_e32 v5, 2, v5
	v_and_b32_e32 v23, 7, v18
	s_or_b64 vcc, s[0:1], vcc
	v_cmp_lt_i32_e64 s[2:3], 5, v23
	v_cmp_eq_u32_e64 s[4:5], 3, v23
	v_addc_co_u32_e32 v5, vcc, 0, v5, vcc
	v_lshrrev_b32_e32 v18, 2, v18
	s_or_b64 vcc, s[4:5], s[2:3]
	v_addc_co_u32_e32 v18, vcc, 0, v18, vcc
	v_cmp_gt_i32_e32 vcc, 31, v17
	v_cndmask_b32_e32 v5, v2, v5, vcc
	v_cmp_gt_i32_e32 vcc, 31, v19
	v_lshl_or_b32 v3, v3, 9, v2
	v_cndmask_b32_e32 v18, v2, v18, vcc
	v_cmp_eq_u32_e32 vcc, s14, v17
	v_lshrrev_b32_e32 v6, 16, v6
	v_lshl_or_b32 v7, v7, 9, v2
	v_cndmask_b32_e32 v3, v5, v3, vcc
	v_cmp_eq_u32_e32 vcc, s14, v19
	v_lshrrev_b32_e32 v8, 16, v8
	v_cndmask_b32_e32 v5, v18, v7, vcc
	v_and_or_b32 v3, v6, s15, v3
	v_and_or_b32 v5, v8, s15, v5
	v_and_b32_e32 v3, 0xffff, v3
	v_add_u32_e32 v21, 0xfffffc10, v21
	v_lshl_or_b32 v3, v5, 16, v3
	v_or_b32_e32 v20, v30, v20
	global_store_dword v[0:1], v3, off
	v_lshl_or_b32 v3, v21, 12, v9
	v_cmp_gt_i32_e32 vcc, 1, v21
	v_cndmask_b32_e32 v3, v3, v20, vcc
	v_and_b32_e32 v5, 7, v3
	v_cmp_lt_i32_e32 vcc, 5, v5
	v_cmp_eq_u32_e64 s[0:1], 3, v5
	v_lshrrev_b32_e32 v5, 2, v3
	v_cvt_f64_f32_e32 v[3:4], v4
	s_or_b64 vcc, s[0:1], vcc
	v_addc_co_u32_e32 v5, vcc, 0, v5, vcc
	v_mul_f64 v[3:4], v[3:4], s[12:13]
	v_cmp_gt_i32_e32 vcc, 31, v21
	v_cndmask_b32_e32 v5, v2, v5, vcc
	v_cmp_ne_u32_e32 vcc, 0, v9
	v_cndmask_b32_e64 v6, 0, 1, vcc
	v_lshl_or_b32 v6, v6, 9, v2
	v_cmp_eq_u32_e32 vcc, s14, v21
	v_cndmask_b32_e32 v5, v5, v6, vcc
	v_and_or_b32 v3, v4, s10, v3
	v_lshrrev_b32_e32 v6, 16, v10
	v_cmp_ne_u32_e32 vcc, 0, v3
	v_and_or_b32 v9, v6, s15, v5
	v_cndmask_b32_e64 v3, 0, 1, vcc
	v_lshrrev_b32_e32 v5, 8, v4
	v_bfe_u32 v6, v4, 20, 11
	v_and_or_b32 v3, v5, s11, v3
	v_sub_u32_e32 v7, 0x3f1, v6
	v_or_b32_e32 v5, 0x1000, v3
	v_med3_i32 v7, v7, 0, 13
	v_lshrrev_b32_e32 v8, v7, v5
	v_lshlrev_b32_e32 v7, v7, v8
	v_cmp_ne_u32_e32 vcc, v7, v5
	v_cndmask_b32_e64 v5, 0, 1, vcc
	v_add_u32_e32 v7, 0xfffffc10, v6
	v_or_b32_e32 v5, v8, v5
	v_lshl_or_b32 v6, v7, 12, v3
	v_cmp_gt_i32_e32 vcc, 1, v7
	v_cndmask_b32_e32 v5, v6, v5, vcc
	v_and_b32_e32 v6, 7, v5
	v_cmp_lt_i32_e32 vcc, 5, v6
	v_cmp_eq_u32_e64 s[0:1], 3, v6
	v_lshrrev_b32_e32 v5, 2, v5
	s_or_b64 vcc, s[0:1], vcc
	v_addc_co_u32_e32 v8, vcc, 0, v5, vcc
	ds_read2_b32 v[5:6], v27 offset0:140 offset1:189
	v_cmp_gt_i32_e32 vcc, 31, v7
	v_cndmask_b32_e32 v8, v2, v8, vcc
	v_cmp_ne_u32_e32 vcc, 0, v3
	v_cndmask_b32_e64 v3, 0, 1, vcc
	s_waitcnt lgkmcnt(0)
	v_lshrrev_b32_e32 v10, 16, v5
	s_waitcnt vmcnt(4)
	v_mul_f16_sdwa v11, v10, v12 dst_sel:DWORD dst_unused:UNUSED_PAD src0_sel:DWORD src1_sel:WORD_1
	v_fma_f16 v11, v5, v12, v11
	v_cvt_f32_f16_e32 v11, v11
	v_lshl_or_b32 v3, v3, 9, v2
	v_cmp_eq_u32_e32 vcc, s14, v7
	v_cndmask_b32_e32 v3, v8, v3, vcc
	v_cvt_f64_f32_e32 v[7:8], v11
	v_lshrrev_b32_e32 v4, 16, v4
	v_and_or_b32 v11, v4, s15, v3
	v_and_b32_e32 v9, 0xffff, v9
	v_mul_f64 v[3:4], v[7:8], s[12:13]
	v_lshl_or_b32 v7, v11, 16, v9
	v_mov_b32_e32 v9, s7
	v_add_co_u32_e32 v0, vcc, s6, v0
	v_addc_co_u32_e32 v1, vcc, v1, v9, vcc
	global_store_dword v[0:1], v7, off
	v_and_or_b32 v3, v4, s10, v3
	v_cmp_ne_u32_e32 vcc, 0, v3
	v_cndmask_b32_e64 v3, 0, 1, vcc
	v_lshrrev_b32_e32 v7, 8, v4
	v_bfe_u32 v8, v4, 20, 11
	v_and_or_b32 v3, v7, s11, v3
	v_sub_u32_e32 v11, 0x3f1, v8
	v_or_b32_e32 v7, 0x1000, v3
	v_med3_i32 v11, v11, 0, 13
	v_lshrrev_b32_e32 v16, v11, v7
	v_lshlrev_b32_e32 v11, v11, v16
	v_mul_f16_sdwa v5, v5, v12 dst_sel:DWORD dst_unused:UNUSED_PAD src0_sel:DWORD src1_sel:WORD_1
	v_cmp_ne_u32_e32 vcc, v11, v7
	v_fma_f16 v5, v12, v10, -v5
	v_cndmask_b32_e64 v7, 0, 1, vcc
	v_add_u32_e32 v11, 0xfffffc10, v8
	v_cvt_f32_f16_e32 v5, v5
	v_or_b32_e32 v7, v16, v7
	v_lshl_or_b32 v8, v11, 12, v3
	v_cmp_gt_i32_e32 vcc, 1, v11
	v_cndmask_b32_e32 v7, v8, v7, vcc
	v_and_b32_e32 v8, 7, v7
	v_cmp_lt_i32_e32 vcc, 5, v8
	v_cmp_eq_u32_e64 s[0:1], 3, v8
	v_lshrrev_b32_e32 v10, 2, v7
	v_cvt_f64_f32_e32 v[7:8], v5
	s_or_b64 vcc, s[0:1], vcc
	v_addc_co_u32_e32 v5, vcc, 0, v10, vcc
	v_mul_f64 v[7:8], v[7:8], s[12:13]
	v_cmp_gt_i32_e32 vcc, 31, v11
	v_cndmask_b32_e32 v5, v2, v5, vcc
	v_cmp_ne_u32_e32 vcc, 0, v3
	v_cndmask_b32_e64 v3, 0, 1, vcc
	v_lshl_or_b32 v3, v3, 9, v2
	v_cmp_eq_u32_e32 vcc, s14, v11
	v_cndmask_b32_e32 v3, v5, v3, vcc
	v_lshrrev_b32_e32 v4, 16, v4
	v_and_or_b32 v5, v4, s15, v3
	v_and_or_b32 v3, v8, s10, v7
	v_cmp_ne_u32_e32 vcc, 0, v3
	v_cndmask_b32_e64 v3, 0, 1, vcc
	v_lshrrev_b32_e32 v4, 8, v8
	v_bfe_u32 v7, v8, 20, 11
	v_and_or_b32 v3, v4, s11, v3
	v_sub_u32_e32 v10, 0x3f1, v7
	v_or_b32_e32 v4, 0x1000, v3
	v_med3_i32 v10, v10, 0, 13
	v_lshrrev_b32_e32 v11, v10, v4
	v_lshlrev_b32_e32 v10, v10, v11
	v_cmp_ne_u32_e32 vcc, v10, v4
	v_cndmask_b32_e64 v4, 0, 1, vcc
	v_add_u32_e32 v7, 0xfffffc10, v7
	v_or_b32_e32 v4, v11, v4
	v_lshl_or_b32 v10, v7, 12, v3
	v_cmp_gt_i32_e32 vcc, 1, v7
	v_cndmask_b32_e32 v4, v10, v4, vcc
	v_and_b32_e32 v10, 7, v4
	v_cmp_lt_i32_e32 vcc, 5, v10
	v_cmp_eq_u32_e64 s[0:1], 3, v10
	v_lshrrev_b32_e32 v4, 2, v4
	s_or_b64 vcc, s[0:1], vcc
	v_addc_co_u32_e32 v4, vcc, 0, v4, vcc
	v_cmp_gt_i32_e32 vcc, 31, v7
	v_lshrrev_b32_e32 v11, 16, v6
	v_cndmask_b32_e32 v10, v2, v4, vcc
	s_waitcnt vmcnt(4)
	v_mul_f16_sdwa v4, v11, v13 dst_sel:DWORD dst_unused:UNUSED_PAD src0_sel:DWORD src1_sel:WORD_1
	v_fma_f16 v4, v6, v13, v4
	v_cvt_f32_f16_e32 v4, v4
	v_cmp_ne_u32_e32 vcc, 0, v3
	v_cndmask_b32_e64 v3, 0, 1, vcc
	v_lshl_or_b32 v12, v3, 9, v2
	v_cvt_f64_f32_e32 v[3:4], v4
	v_cmp_eq_u32_e32 vcc, s14, v7
	v_cndmask_b32_e32 v7, v10, v12, vcc
	v_lshrrev_b32_e32 v8, 16, v8
	v_mul_f64 v[3:4], v[3:4], s[12:13]
	v_add_co_u32_e32 v0, vcc, s6, v0
	v_and_or_b32 v7, v8, s15, v7
	v_and_b32_e32 v5, 0xffff, v5
	v_addc_co_u32_e32 v1, vcc, v1, v9, vcc
	v_lshl_or_b32 v5, v7, 16, v5
	v_and_or_b32 v3, v4, s10, v3
	v_cmp_ne_u32_e32 vcc, 0, v3
	global_store_dword v[0:1], v5, off
	v_cndmask_b32_e64 v3, 0, 1, vcc
	v_lshrrev_b32_e32 v5, 8, v4
	v_bfe_u32 v7, v4, 20, 11
	v_and_or_b32 v3, v5, s11, v3
	v_sub_u32_e32 v8, 0x3f1, v7
	v_or_b32_e32 v5, 0x1000, v3
	v_med3_i32 v8, v8, 0, 13
	v_lshrrev_b32_e32 v10, v8, v5
	v_lshlrev_b32_e32 v8, v8, v10
	v_mul_f16_sdwa v6, v6, v13 dst_sel:DWORD dst_unused:UNUSED_PAD src0_sel:DWORD src1_sel:WORD_1
	v_cmp_ne_u32_e32 vcc, v8, v5
	v_fma_f16 v6, v13, v11, -v6
	v_cndmask_b32_e64 v5, 0, 1, vcc
	v_add_u32_e32 v7, 0xfffffc10, v7
	v_cvt_f32_f16_e32 v6, v6
	v_or_b32_e32 v5, v10, v5
	v_lshl_or_b32 v8, v7, 12, v3
	v_cmp_gt_i32_e32 vcc, 1, v7
	v_cndmask_b32_e32 v5, v8, v5, vcc
	v_and_b32_e32 v8, 7, v5
	v_cmp_lt_i32_e32 vcc, 5, v8
	v_cmp_eq_u32_e64 s[0:1], 3, v8
	v_lshrrev_b32_e32 v8, 2, v5
	v_cvt_f64_f32_e32 v[5:6], v6
	s_or_b64 vcc, s[0:1], vcc
	v_addc_co_u32_e32 v8, vcc, 0, v8, vcc
	v_mul_f64 v[5:6], v[5:6], s[12:13]
	v_cmp_gt_i32_e32 vcc, 31, v7
	v_cndmask_b32_e32 v8, v2, v8, vcc
	v_cmp_ne_u32_e32 vcc, 0, v3
	v_cndmask_b32_e64 v3, 0, 1, vcc
	v_lshl_or_b32 v3, v3, 9, v2
	v_cmp_eq_u32_e32 vcc, s14, v7
	v_cndmask_b32_e32 v3, v8, v3, vcc
	v_lshrrev_b32_e32 v4, 16, v4
	v_and_or_b32 v10, v4, s15, v3
	v_and_or_b32 v3, v6, s10, v5
	v_cmp_ne_u32_e32 vcc, 0, v3
	v_cndmask_b32_e64 v3, 0, 1, vcc
	v_lshrrev_b32_e32 v4, 8, v6
	v_and_or_b32 v5, v4, s11, v3
	v_bfe_u32 v4, v6, 20, 11
	v_sub_u32_e32 v7, 0x3f1, v4
	v_or_b32_e32 v3, 0x1000, v5
	v_med3_i32 v7, v7, 0, 13
	v_lshrrev_b32_e32 v8, v7, v3
	v_lshlrev_b32_e32 v7, v7, v8
	v_cmp_ne_u32_e32 vcc, v7, v3
	v_cndmask_b32_e64 v3, 0, 1, vcc
	v_add_u32_e32 v11, 0xfffffc10, v4
	v_or_b32_e32 v3, v8, v3
	v_lshl_or_b32 v4, v11, 12, v5
	v_cmp_gt_i32_e32 vcc, 1, v11
	v_cndmask_b32_e32 v3, v4, v3, vcc
	v_and_b32_e32 v4, 7, v3
	v_lshrrev_b32_e32 v7, 2, v3
	v_add_u32_e32 v3, 0x200, v27
	v_cmp_lt_i32_e32 vcc, 5, v4
	v_cmp_eq_u32_e64 s[0:1], 3, v4
	ds_read2_b32 v[3:4], v3 offset0:110 offset1:159
	s_or_b64 vcc, s[0:1], vcc
	v_addc_co_u32_e32 v7, vcc, 0, v7, vcc
	v_cmp_gt_i32_e32 vcc, 31, v11
	s_waitcnt lgkmcnt(0)
	v_lshrrev_b32_e32 v13, 16, v3
	v_cndmask_b32_e32 v12, v2, v7, vcc
	s_waitcnt vmcnt(4)
	v_mul_f16_sdwa v7, v13, v14 dst_sel:DWORD dst_unused:UNUSED_PAD src0_sel:DWORD src1_sel:WORD_1
	v_fma_f16 v7, v3, v14, v7
	v_cvt_f32_f16_e32 v7, v7
	v_cmp_ne_u32_e32 vcc, 0, v5
	v_cndmask_b32_e64 v5, 0, 1, vcc
	v_lshl_or_b32 v5, v5, 9, v2
	v_cvt_f64_f32_e32 v[7:8], v7
	v_cmp_eq_u32_e32 vcc, s14, v11
	v_cndmask_b32_e32 v5, v12, v5, vcc
	v_lshrrev_b32_e32 v6, 16, v6
	v_and_or_b32 v11, v6, s15, v5
	v_mul_f64 v[5:6], v[7:8], s[12:13]
	v_add_co_u32_e32 v0, vcc, s6, v0
	v_and_b32_e32 v7, 0xffff, v10
	v_addc_co_u32_e32 v1, vcc, v1, v9, vcc
	v_lshl_or_b32 v7, v11, 16, v7
	global_store_dword v[0:1], v7, off
	v_and_or_b32 v5, v6, s10, v5
	v_cmp_ne_u32_e32 vcc, 0, v5
	v_cndmask_b32_e64 v5, 0, 1, vcc
	v_lshrrev_b32_e32 v7, 8, v6
	v_bfe_u32 v8, v6, 20, 11
	v_and_or_b32 v5, v7, s11, v5
	v_sub_u32_e32 v10, 0x3f1, v8
	v_or_b32_e32 v7, 0x1000, v5
	v_med3_i32 v10, v10, 0, 13
	v_lshrrev_b32_e32 v11, v10, v7
	v_lshlrev_b32_e32 v10, v10, v11
	v_mul_f16_sdwa v3, v3, v14 dst_sel:DWORD dst_unused:UNUSED_PAD src0_sel:DWORD src1_sel:WORD_1
	v_cmp_ne_u32_e32 vcc, v10, v7
	v_fma_f16 v3, v14, v13, -v3
	v_cndmask_b32_e64 v7, 0, 1, vcc
	v_add_u32_e32 v10, 0xfffffc10, v8
	v_cvt_f32_f16_e32 v3, v3
	v_or_b32_e32 v7, v11, v7
	v_lshl_or_b32 v8, v10, 12, v5
	v_cmp_gt_i32_e32 vcc, 1, v10
	v_cndmask_b32_e32 v7, v8, v7, vcc
	v_and_b32_e32 v8, 7, v7
	v_cmp_lt_i32_e32 vcc, 5, v8
	v_cmp_eq_u32_e64 s[0:1], 3, v8
	v_lshrrev_b32_e32 v11, 2, v7
	v_cvt_f64_f32_e32 v[7:8], v3
	s_or_b64 vcc, s[0:1], vcc
	v_addc_co_u32_e32 v3, vcc, 0, v11, vcc
	v_mul_f64 v[7:8], v[7:8], s[12:13]
	v_cmp_gt_i32_e32 vcc, 31, v10
	v_cndmask_b32_e32 v3, v2, v3, vcc
	v_cmp_ne_u32_e32 vcc, 0, v5
	v_cndmask_b32_e64 v5, 0, 1, vcc
	v_lshl_or_b32 v5, v5, 9, v2
	v_cmp_eq_u32_e32 vcc, s14, v10
	v_cndmask_b32_e32 v3, v3, v5, vcc
	v_lshrrev_b32_e32 v5, 16, v6
	v_and_or_b32 v3, v5, s15, v3
	v_and_or_b32 v5, v8, s10, v7
	v_cmp_ne_u32_e32 vcc, 0, v5
	v_cndmask_b32_e64 v5, 0, 1, vcc
	v_lshrrev_b32_e32 v6, 8, v8
	v_bfe_u32 v7, v8, 20, 11
	v_and_or_b32 v5, v6, s11, v5
	v_sub_u32_e32 v10, 0x3f1, v7
	v_or_b32_e32 v6, 0x1000, v5
	v_med3_i32 v10, v10, 0, 13
	v_lshrrev_b32_e32 v11, v10, v6
	v_lshlrev_b32_e32 v10, v10, v11
	v_cmp_ne_u32_e32 vcc, v10, v6
	v_cndmask_b32_e64 v6, 0, 1, vcc
	v_add_u32_e32 v7, 0xfffffc10, v7
	v_or_b32_e32 v6, v11, v6
	v_lshl_or_b32 v10, v7, 12, v5
	v_cmp_gt_i32_e32 vcc, 1, v7
	v_cndmask_b32_e32 v6, v10, v6, vcc
	v_and_b32_e32 v10, 7, v6
	v_cmp_lt_i32_e32 vcc, 5, v10
	v_cmp_eq_u32_e64 s[0:1], 3, v10
	v_lshrrev_b32_e32 v6, 2, v6
	s_or_b64 vcc, s[0:1], vcc
	v_addc_co_u32_e32 v6, vcc, 0, v6, vcc
	v_cmp_gt_i32_e32 vcc, 31, v7
	v_lshrrev_b32_e32 v11, 16, v4
	v_cndmask_b32_e32 v10, v2, v6, vcc
	s_waitcnt vmcnt(4)
	v_mul_f16_sdwa v6, v11, v15 dst_sel:DWORD dst_unused:UNUSED_PAD src0_sel:DWORD src1_sel:WORD_1
	v_fma_f16 v6, v4, v15, v6
	v_cvt_f32_f16_e32 v6, v6
	v_cmp_ne_u32_e32 vcc, 0, v5
	v_cndmask_b32_e64 v5, 0, 1, vcc
	v_lshl_or_b32 v12, v5, 9, v2
	v_cvt_f64_f32_e32 v[5:6], v6
	v_cmp_eq_u32_e32 vcc, s14, v7
	v_cndmask_b32_e32 v7, v10, v12, vcc
	v_lshrrev_b32_e32 v8, 16, v8
	v_mul_f64 v[5:6], v[5:6], s[12:13]
	v_and_or_b32 v7, v8, s15, v7
	v_and_b32_e32 v3, 0xffff, v3
	v_add_co_u32_e32 v0, vcc, s6, v0
	v_lshl_or_b32 v3, v7, 16, v3
	v_addc_co_u32_e32 v1, vcc, v1, v9, vcc
	global_store_dword v[0:1], v3, off
	v_and_or_b32 v3, v6, s10, v5
	v_cmp_ne_u32_e32 vcc, 0, v3
	v_cndmask_b32_e64 v3, 0, 1, vcc
	v_lshrrev_b32_e32 v5, 8, v6
	v_bfe_u32 v7, v6, 20, 11
	v_and_or_b32 v5, v5, s11, v3
	v_sub_u32_e32 v8, 0x3f1, v7
	v_or_b32_e32 v3, 0x1000, v5
	v_med3_i32 v8, v8, 0, 13
	v_lshrrev_b32_e32 v10, v8, v3
	v_lshlrev_b32_e32 v8, v8, v10
	v_mul_f16_sdwa v4, v4, v15 dst_sel:DWORD dst_unused:UNUSED_PAD src0_sel:DWORD src1_sel:WORD_1
	v_cmp_ne_u32_e32 vcc, v8, v3
	v_fma_f16 v4, v15, v11, -v4
	v_cndmask_b32_e64 v3, 0, 1, vcc
	v_add_u32_e32 v7, 0xfffffc10, v7
	v_cvt_f32_f16_e32 v4, v4
	v_or_b32_e32 v3, v10, v3
	v_lshl_or_b32 v8, v7, 12, v5
	v_cmp_gt_i32_e32 vcc, 1, v7
	v_cndmask_b32_e32 v3, v8, v3, vcc
	v_and_b32_e32 v8, 7, v3
	v_cmp_lt_i32_e32 vcc, 5, v8
	v_cmp_eq_u32_e64 s[0:1], 3, v8
	v_lshrrev_b32_e32 v8, 2, v3
	v_cvt_f64_f32_e32 v[3:4], v4
	s_or_b64 vcc, s[0:1], vcc
	v_addc_co_u32_e32 v8, vcc, 0, v8, vcc
	v_mul_f64 v[3:4], v[3:4], s[12:13]
	v_cmp_gt_i32_e32 vcc, 31, v7
	v_cndmask_b32_e32 v8, v2, v8, vcc
	v_cmp_ne_u32_e32 vcc, 0, v5
	v_cndmask_b32_e64 v5, 0, 1, vcc
	v_lshl_or_b32 v5, v5, 9, v2
	v_cmp_eq_u32_e32 vcc, s14, v7
	v_cndmask_b32_e32 v5, v8, v5, vcc
	v_and_or_b32 v3, v4, s10, v3
	v_lshrrev_b32_e32 v6, 16, v6
	v_cmp_ne_u32_e32 vcc, 0, v3
	v_and_or_b32 v5, v6, s15, v5
	v_cndmask_b32_e64 v3, 0, 1, vcc
	v_lshrrev_b32_e32 v6, 8, v4
	v_bfe_u32 v7, v4, 20, 11
	v_and_or_b32 v3, v6, s11, v3
	v_sub_u32_e32 v8, 0x3f1, v7
	v_or_b32_e32 v6, 0x1000, v3
	v_med3_i32 v8, v8, 0, 13
	v_lshrrev_b32_e32 v10, v8, v6
	v_lshlrev_b32_e32 v8, v8, v10
	v_cmp_ne_u32_e32 vcc, v8, v6
	v_cndmask_b32_e64 v6, 0, 1, vcc
	v_add_u32_e32 v7, 0xfffffc10, v7
	v_or_b32_e32 v6, v10, v6
	v_lshl_or_b32 v8, v7, 12, v3
	v_cmp_gt_i32_e32 vcc, 1, v7
	v_cndmask_b32_e32 v6, v8, v6, vcc
	v_and_b32_e32 v8, 7, v6
	v_cmp_lt_i32_e32 vcc, 5, v8
	v_cmp_eq_u32_e64 s[0:1], 3, v8
	v_lshrrev_b32_e32 v6, 2, v6
	s_or_b64 vcc, s[0:1], vcc
	v_addc_co_u32_e32 v6, vcc, 0, v6, vcc
	v_cmp_gt_i32_e32 vcc, 31, v7
	v_cndmask_b32_e32 v6, v2, v6, vcc
	v_cmp_ne_u32_e32 vcc, 0, v3
	v_cndmask_b32_e64 v3, 0, 1, vcc
	v_lshl_or_b32 v2, v3, 9, v2
	v_cmp_eq_u32_e32 vcc, s14, v7
	v_cndmask_b32_e32 v2, v6, v2, vcc
	v_lshrrev_b32_e32 v3, 16, v4
	v_and_or_b32 v2, v3, s15, v2
	v_and_b32_e32 v3, 0xffff, v5
	v_add_co_u32_e32 v0, vcc, s6, v0
	v_lshl_or_b32 v2, v2, 16, v3
	v_addc_co_u32_e32 v1, vcc, v1, v9, vcc
	global_store_dword v[0:1], v2, off
.LBB0_15:
	s_endpgm
	.section	.rodata,"a",@progbits
	.p2align	6, 0x0
	.amdhsa_kernel bluestein_single_back_len294_dim1_half_op_CI_CI
		.amdhsa_group_segment_fixed_size 3528
		.amdhsa_private_segment_fixed_size 0
		.amdhsa_kernarg_size 104
		.amdhsa_user_sgpr_count 6
		.amdhsa_user_sgpr_private_segment_buffer 1
		.amdhsa_user_sgpr_dispatch_ptr 0
		.amdhsa_user_sgpr_queue_ptr 0
		.amdhsa_user_sgpr_kernarg_segment_ptr 1
		.amdhsa_user_sgpr_dispatch_id 0
		.amdhsa_user_sgpr_flat_scratch_init 0
		.amdhsa_user_sgpr_private_segment_size 0
		.amdhsa_uses_dynamic_stack 0
		.amdhsa_system_sgpr_private_segment_wavefront_offset 0
		.amdhsa_system_sgpr_workgroup_id_x 1
		.amdhsa_system_sgpr_workgroup_id_y 0
		.amdhsa_system_sgpr_workgroup_id_z 0
		.amdhsa_system_sgpr_workgroup_info 0
		.amdhsa_system_vgpr_workitem_id 0
		.amdhsa_next_free_vgpr 56
		.amdhsa_next_free_sgpr 18
		.amdhsa_reserve_vcc 1
		.amdhsa_reserve_flat_scratch 0
		.amdhsa_float_round_mode_32 0
		.amdhsa_float_round_mode_16_64 0
		.amdhsa_float_denorm_mode_32 3
		.amdhsa_float_denorm_mode_16_64 3
		.amdhsa_dx10_clamp 1
		.amdhsa_ieee_mode 1
		.amdhsa_fp16_overflow 0
		.amdhsa_exception_fp_ieee_invalid_op 0
		.amdhsa_exception_fp_denorm_src 0
		.amdhsa_exception_fp_ieee_div_zero 0
		.amdhsa_exception_fp_ieee_overflow 0
		.amdhsa_exception_fp_ieee_underflow 0
		.amdhsa_exception_fp_ieee_inexact 0
		.amdhsa_exception_int_div_zero 0
	.end_amdhsa_kernel
	.text
.Lfunc_end0:
	.size	bluestein_single_back_len294_dim1_half_op_CI_CI, .Lfunc_end0-bluestein_single_back_len294_dim1_half_op_CI_CI
                                        ; -- End function
	.section	.AMDGPU.csdata,"",@progbits
; Kernel info:
; codeLenInByte = 13756
; NumSgprs: 22
; NumVgprs: 56
; ScratchSize: 0
; MemoryBound: 0
; FloatMode: 240
; IeeeMode: 1
; LDSByteSize: 3528 bytes/workgroup (compile time only)
; SGPRBlocks: 2
; VGPRBlocks: 13
; NumSGPRsForWavesPerEU: 22
; NumVGPRsForWavesPerEU: 56
; Occupancy: 4
; WaveLimiterHint : 1
; COMPUTE_PGM_RSRC2:SCRATCH_EN: 0
; COMPUTE_PGM_RSRC2:USER_SGPR: 6
; COMPUTE_PGM_RSRC2:TRAP_HANDLER: 0
; COMPUTE_PGM_RSRC2:TGID_X_EN: 1
; COMPUTE_PGM_RSRC2:TGID_Y_EN: 0
; COMPUTE_PGM_RSRC2:TGID_Z_EN: 0
; COMPUTE_PGM_RSRC2:TIDIG_COMP_CNT: 0
	.type	__hip_cuid_1c2a65d800376620,@object ; @__hip_cuid_1c2a65d800376620
	.section	.bss,"aw",@nobits
	.globl	__hip_cuid_1c2a65d800376620
__hip_cuid_1c2a65d800376620:
	.byte	0                               ; 0x0
	.size	__hip_cuid_1c2a65d800376620, 1

	.ident	"AMD clang version 19.0.0git (https://github.com/RadeonOpenCompute/llvm-project roc-6.4.0 25133 c7fe45cf4b819c5991fe208aaa96edf142730f1d)"
	.section	".note.GNU-stack","",@progbits
	.addrsig
	.addrsig_sym __hip_cuid_1c2a65d800376620
	.amdgpu_metadata
---
amdhsa.kernels:
  - .args:
      - .actual_access:  read_only
        .address_space:  global
        .offset:         0
        .size:           8
        .value_kind:     global_buffer
      - .actual_access:  read_only
        .address_space:  global
        .offset:         8
        .size:           8
        .value_kind:     global_buffer
      - .actual_access:  read_only
        .address_space:  global
        .offset:         16
        .size:           8
        .value_kind:     global_buffer
      - .actual_access:  read_only
        .address_space:  global
        .offset:         24
        .size:           8
        .value_kind:     global_buffer
      - .actual_access:  read_only
        .address_space:  global
        .offset:         32
        .size:           8
        .value_kind:     global_buffer
      - .offset:         40
        .size:           8
        .value_kind:     by_value
      - .address_space:  global
        .offset:         48
        .size:           8
        .value_kind:     global_buffer
      - .address_space:  global
        .offset:         56
        .size:           8
        .value_kind:     global_buffer
      - .address_space:  global
        .offset:         64
        .size:           8
        .value_kind:     global_buffer
      - .address_space:  global
        .offset:         72
        .size:           8
        .value_kind:     global_buffer
      - .offset:         80
        .size:           4
        .value_kind:     by_value
      - .address_space:  global
        .offset:         88
        .size:           8
        .value_kind:     global_buffer
      - .address_space:  global
        .offset:         96
        .size:           8
        .value_kind:     global_buffer
    .group_segment_fixed_size: 3528
    .kernarg_segment_align: 8
    .kernarg_segment_size: 104
    .language:       OpenCL C
    .language_version:
      - 2
      - 0
    .max_flat_workgroup_size: 126
    .name:           bluestein_single_back_len294_dim1_half_op_CI_CI
    .private_segment_fixed_size: 0
    .sgpr_count:     22
    .sgpr_spill_count: 0
    .symbol:         bluestein_single_back_len294_dim1_half_op_CI_CI.kd
    .uniform_work_group_size: 1
    .uses_dynamic_stack: false
    .vgpr_count:     56
    .vgpr_spill_count: 0
    .wavefront_size: 64
amdhsa.target:   amdgcn-amd-amdhsa--gfx906
amdhsa.version:
  - 1
  - 2
...

	.end_amdgpu_metadata
